;; amdgpu-corpus repo=ROCm/hipCUB kind=compiled arch=gfx1030 opt=O3
	.amdgcn_target "amdgcn-amd-amdhsa--gfx1030"
	.amdhsa_code_object_version 6
	.section	.text._Z17warp_store_kernelILj256ELj4ELj32ELN6hipcub18WarpStoreAlgorithmE0EiEvPT3_,"axG",@progbits,_Z17warp_store_kernelILj256ELj4ELj32ELN6hipcub18WarpStoreAlgorithmE0EiEvPT3_,comdat
	.protected	_Z17warp_store_kernelILj256ELj4ELj32ELN6hipcub18WarpStoreAlgorithmE0EiEvPT3_ ; -- Begin function _Z17warp_store_kernelILj256ELj4ELj32ELN6hipcub18WarpStoreAlgorithmE0EiEvPT3_
	.globl	_Z17warp_store_kernelILj256ELj4ELj32ELN6hipcub18WarpStoreAlgorithmE0EiEvPT3_
	.p2align	8
	.type	_Z17warp_store_kernelILj256ELj4ELj32ELN6hipcub18WarpStoreAlgorithmE0EiEvPT3_,@function
_Z17warp_store_kernelILj256ELj4ELj32ELN6hipcub18WarpStoreAlgorithmE0EiEvPT3_: ; @_Z17warp_store_kernelILj256ELj4ELj32ELN6hipcub18WarpStoreAlgorithmE0EiEvPT3_
; %bb.0:
	s_load_dwordx2 s[0:1], s[4:5], 0x0
	v_lshlrev_b32_e32 v0, 2, v0
	s_lshl_b32 s2, s6, 10
	v_mov_b32_e32 v4, 0
	v_mov_b32_e32 v1, 1
	v_mov_b32_e32 v2, 2
	v_and_or_b32 v3, 0x380, v0, s2
	v_mbcnt_lo_u32_b32 v0, -1, 0
	v_lshlrev_b64 v[5:6], 2, v[3:4]
	v_lshlrev_b32_e32 v0, 4, v0
	v_mov_b32_e32 v3, 3
	s_waitcnt lgkmcnt(0)
	v_add_co_u32 v5, vcc_lo, s0, v5
	v_add_co_ci_u32_e64 v6, null, s1, v6, vcc_lo
	v_add_co_u32 v5, vcc_lo, v5, v0
	v_add_co_ci_u32_e64 v6, null, 0, v6, vcc_lo
	v_mov_b32_e32 v0, v4
	global_store_dwordx4 v[5:6], v[0:3], off
	s_endpgm
	.section	.rodata,"a",@progbits
	.p2align	6, 0x0
	.amdhsa_kernel _Z17warp_store_kernelILj256ELj4ELj32ELN6hipcub18WarpStoreAlgorithmE0EiEvPT3_
		.amdhsa_group_segment_fixed_size 0
		.amdhsa_private_segment_fixed_size 0
		.amdhsa_kernarg_size 8
		.amdhsa_user_sgpr_count 6
		.amdhsa_user_sgpr_private_segment_buffer 1
		.amdhsa_user_sgpr_dispatch_ptr 0
		.amdhsa_user_sgpr_queue_ptr 0
		.amdhsa_user_sgpr_kernarg_segment_ptr 1
		.amdhsa_user_sgpr_dispatch_id 0
		.amdhsa_user_sgpr_flat_scratch_init 0
		.amdhsa_user_sgpr_private_segment_size 0
		.amdhsa_wavefront_size32 1
		.amdhsa_uses_dynamic_stack 0
		.amdhsa_system_sgpr_private_segment_wavefront_offset 0
		.amdhsa_system_sgpr_workgroup_id_x 1
		.amdhsa_system_sgpr_workgroup_id_y 0
		.amdhsa_system_sgpr_workgroup_id_z 0
		.amdhsa_system_sgpr_workgroup_info 0
		.amdhsa_system_vgpr_workitem_id 0
		.amdhsa_next_free_vgpr 7
		.amdhsa_next_free_sgpr 7
		.amdhsa_reserve_vcc 1
		.amdhsa_reserve_flat_scratch 0
		.amdhsa_float_round_mode_32 0
		.amdhsa_float_round_mode_16_64 0
		.amdhsa_float_denorm_mode_32 3
		.amdhsa_float_denorm_mode_16_64 3
		.amdhsa_dx10_clamp 1
		.amdhsa_ieee_mode 1
		.amdhsa_fp16_overflow 0
		.amdhsa_workgroup_processor_mode 1
		.amdhsa_memory_ordered 1
		.amdhsa_forward_progress 1
		.amdhsa_shared_vgpr_count 0
		.amdhsa_exception_fp_ieee_invalid_op 0
		.amdhsa_exception_fp_denorm_src 0
		.amdhsa_exception_fp_ieee_div_zero 0
		.amdhsa_exception_fp_ieee_overflow 0
		.amdhsa_exception_fp_ieee_underflow 0
		.amdhsa_exception_fp_ieee_inexact 0
		.amdhsa_exception_int_div_zero 0
	.end_amdhsa_kernel
	.section	.text._Z17warp_store_kernelILj256ELj4ELj32ELN6hipcub18WarpStoreAlgorithmE0EiEvPT3_,"axG",@progbits,_Z17warp_store_kernelILj256ELj4ELj32ELN6hipcub18WarpStoreAlgorithmE0EiEvPT3_,comdat
.Lfunc_end0:
	.size	_Z17warp_store_kernelILj256ELj4ELj32ELN6hipcub18WarpStoreAlgorithmE0EiEvPT3_, .Lfunc_end0-_Z17warp_store_kernelILj256ELj4ELj32ELN6hipcub18WarpStoreAlgorithmE0EiEvPT3_
                                        ; -- End function
	.set _Z17warp_store_kernelILj256ELj4ELj32ELN6hipcub18WarpStoreAlgorithmE0EiEvPT3_.num_vgpr, 7
	.set _Z17warp_store_kernelILj256ELj4ELj32ELN6hipcub18WarpStoreAlgorithmE0EiEvPT3_.num_agpr, 0
	.set _Z17warp_store_kernelILj256ELj4ELj32ELN6hipcub18WarpStoreAlgorithmE0EiEvPT3_.numbered_sgpr, 7
	.set _Z17warp_store_kernelILj256ELj4ELj32ELN6hipcub18WarpStoreAlgorithmE0EiEvPT3_.num_named_barrier, 0
	.set _Z17warp_store_kernelILj256ELj4ELj32ELN6hipcub18WarpStoreAlgorithmE0EiEvPT3_.private_seg_size, 0
	.set _Z17warp_store_kernelILj256ELj4ELj32ELN6hipcub18WarpStoreAlgorithmE0EiEvPT3_.uses_vcc, 1
	.set _Z17warp_store_kernelILj256ELj4ELj32ELN6hipcub18WarpStoreAlgorithmE0EiEvPT3_.uses_flat_scratch, 0
	.set _Z17warp_store_kernelILj256ELj4ELj32ELN6hipcub18WarpStoreAlgorithmE0EiEvPT3_.has_dyn_sized_stack, 0
	.set _Z17warp_store_kernelILj256ELj4ELj32ELN6hipcub18WarpStoreAlgorithmE0EiEvPT3_.has_recursion, 0
	.set _Z17warp_store_kernelILj256ELj4ELj32ELN6hipcub18WarpStoreAlgorithmE0EiEvPT3_.has_indirect_call, 0
	.section	.AMDGPU.csdata,"",@progbits
; Kernel info:
; codeLenInByte = 116
; TotalNumSgprs: 9
; NumVgprs: 7
; ScratchSize: 0
; MemoryBound: 0
; FloatMode: 240
; IeeeMode: 1
; LDSByteSize: 0 bytes/workgroup (compile time only)
; SGPRBlocks: 0
; VGPRBlocks: 0
; NumSGPRsForWavesPerEU: 9
; NumVGPRsForWavesPerEU: 7
; Occupancy: 16
; WaveLimiterHint : 0
; COMPUTE_PGM_RSRC2:SCRATCH_EN: 0
; COMPUTE_PGM_RSRC2:USER_SGPR: 6
; COMPUTE_PGM_RSRC2:TRAP_HANDLER: 0
; COMPUTE_PGM_RSRC2:TGID_X_EN: 1
; COMPUTE_PGM_RSRC2:TGID_Y_EN: 0
; COMPUTE_PGM_RSRC2:TGID_Z_EN: 0
; COMPUTE_PGM_RSRC2:TIDIG_COMP_CNT: 0
	.section	.text._Z17warp_store_kernelILj256ELj4ELj32ELN6hipcub18WarpStoreAlgorithmE1EiEvPT3_,"axG",@progbits,_Z17warp_store_kernelILj256ELj4ELj32ELN6hipcub18WarpStoreAlgorithmE1EiEvPT3_,comdat
	.protected	_Z17warp_store_kernelILj256ELj4ELj32ELN6hipcub18WarpStoreAlgorithmE1EiEvPT3_ ; -- Begin function _Z17warp_store_kernelILj256ELj4ELj32ELN6hipcub18WarpStoreAlgorithmE1EiEvPT3_
	.globl	_Z17warp_store_kernelILj256ELj4ELj32ELN6hipcub18WarpStoreAlgorithmE1EiEvPT3_
	.p2align	8
	.type	_Z17warp_store_kernelILj256ELj4ELj32ELN6hipcub18WarpStoreAlgorithmE1EiEvPT3_,@function
_Z17warp_store_kernelILj256ELj4ELj32ELN6hipcub18WarpStoreAlgorithmE1EiEvPT3_: ; @_Z17warp_store_kernelILj256ELj4ELj32ELN6hipcub18WarpStoreAlgorithmE1EiEvPT3_
; %bb.0:
	s_load_dwordx2 s[0:1], s[4:5], 0x0
	v_lshlrev_b32_e32 v0, 2, v0
	s_lshl_b32 s2, s6, 10
	v_mov_b32_e32 v1, 0
	v_mbcnt_lo_u32_b32 v4, -1, 0
	v_mov_b32_e32 v5, 3
	v_and_or_b32 v0, 0x380, v0, s2
	v_lshlrev_b64 v[2:3], 2, v[0:1]
	v_lshlrev_b32_e32 v0, 2, v4
	v_mov_b32_e32 v4, 2
	s_waitcnt lgkmcnt(0)
	v_add_co_u32 v2, vcc_lo, s0, v2
	v_add_co_ci_u32_e64 v3, null, s1, v3, vcc_lo
	v_add_co_u32 v2, vcc_lo, v2, v0
	v_add_co_ci_u32_e64 v3, null, 0, v3, vcc_lo
	v_mov_b32_e32 v0, 1
	global_store_dword v[2:3], v1, off
	global_store_dword v[2:3], v0, off offset:128
	global_store_dword v[2:3], v4, off offset:256
	;; [unrolled: 1-line block ×3, first 2 shown]
	s_endpgm
	.section	.rodata,"a",@progbits
	.p2align	6, 0x0
	.amdhsa_kernel _Z17warp_store_kernelILj256ELj4ELj32ELN6hipcub18WarpStoreAlgorithmE1EiEvPT3_
		.amdhsa_group_segment_fixed_size 0
		.amdhsa_private_segment_fixed_size 0
		.amdhsa_kernarg_size 8
		.amdhsa_user_sgpr_count 6
		.amdhsa_user_sgpr_private_segment_buffer 1
		.amdhsa_user_sgpr_dispatch_ptr 0
		.amdhsa_user_sgpr_queue_ptr 0
		.amdhsa_user_sgpr_kernarg_segment_ptr 1
		.amdhsa_user_sgpr_dispatch_id 0
		.amdhsa_user_sgpr_flat_scratch_init 0
		.amdhsa_user_sgpr_private_segment_size 0
		.amdhsa_wavefront_size32 1
		.amdhsa_uses_dynamic_stack 0
		.amdhsa_system_sgpr_private_segment_wavefront_offset 0
		.amdhsa_system_sgpr_workgroup_id_x 1
		.amdhsa_system_sgpr_workgroup_id_y 0
		.amdhsa_system_sgpr_workgroup_id_z 0
		.amdhsa_system_sgpr_workgroup_info 0
		.amdhsa_system_vgpr_workitem_id 0
		.amdhsa_next_free_vgpr 6
		.amdhsa_next_free_sgpr 7
		.amdhsa_reserve_vcc 1
		.amdhsa_reserve_flat_scratch 0
		.amdhsa_float_round_mode_32 0
		.amdhsa_float_round_mode_16_64 0
		.amdhsa_float_denorm_mode_32 3
		.amdhsa_float_denorm_mode_16_64 3
		.amdhsa_dx10_clamp 1
		.amdhsa_ieee_mode 1
		.amdhsa_fp16_overflow 0
		.amdhsa_workgroup_processor_mode 1
		.amdhsa_memory_ordered 1
		.amdhsa_forward_progress 1
		.amdhsa_shared_vgpr_count 0
		.amdhsa_exception_fp_ieee_invalid_op 0
		.amdhsa_exception_fp_denorm_src 0
		.amdhsa_exception_fp_ieee_div_zero 0
		.amdhsa_exception_fp_ieee_overflow 0
		.amdhsa_exception_fp_ieee_underflow 0
		.amdhsa_exception_fp_ieee_inexact 0
		.amdhsa_exception_int_div_zero 0
	.end_amdhsa_kernel
	.section	.text._Z17warp_store_kernelILj256ELj4ELj32ELN6hipcub18WarpStoreAlgorithmE1EiEvPT3_,"axG",@progbits,_Z17warp_store_kernelILj256ELj4ELj32ELN6hipcub18WarpStoreAlgorithmE1EiEvPT3_,comdat
.Lfunc_end1:
	.size	_Z17warp_store_kernelILj256ELj4ELj32ELN6hipcub18WarpStoreAlgorithmE1EiEvPT3_, .Lfunc_end1-_Z17warp_store_kernelILj256ELj4ELj32ELN6hipcub18WarpStoreAlgorithmE1EiEvPT3_
                                        ; -- End function
	.set _Z17warp_store_kernelILj256ELj4ELj32ELN6hipcub18WarpStoreAlgorithmE1EiEvPT3_.num_vgpr, 6
	.set _Z17warp_store_kernelILj256ELj4ELj32ELN6hipcub18WarpStoreAlgorithmE1EiEvPT3_.num_agpr, 0
	.set _Z17warp_store_kernelILj256ELj4ELj32ELN6hipcub18WarpStoreAlgorithmE1EiEvPT3_.numbered_sgpr, 7
	.set _Z17warp_store_kernelILj256ELj4ELj32ELN6hipcub18WarpStoreAlgorithmE1EiEvPT3_.num_named_barrier, 0
	.set _Z17warp_store_kernelILj256ELj4ELj32ELN6hipcub18WarpStoreAlgorithmE1EiEvPT3_.private_seg_size, 0
	.set _Z17warp_store_kernelILj256ELj4ELj32ELN6hipcub18WarpStoreAlgorithmE1EiEvPT3_.uses_vcc, 1
	.set _Z17warp_store_kernelILj256ELj4ELj32ELN6hipcub18WarpStoreAlgorithmE1EiEvPT3_.uses_flat_scratch, 0
	.set _Z17warp_store_kernelILj256ELj4ELj32ELN6hipcub18WarpStoreAlgorithmE1EiEvPT3_.has_dyn_sized_stack, 0
	.set _Z17warp_store_kernelILj256ELj4ELj32ELN6hipcub18WarpStoreAlgorithmE1EiEvPT3_.has_recursion, 0
	.set _Z17warp_store_kernelILj256ELj4ELj32ELN6hipcub18WarpStoreAlgorithmE1EiEvPT3_.has_indirect_call, 0
	.section	.AMDGPU.csdata,"",@progbits
; Kernel info:
; codeLenInByte = 136
; TotalNumSgprs: 9
; NumVgprs: 6
; ScratchSize: 0
; MemoryBound: 0
; FloatMode: 240
; IeeeMode: 1
; LDSByteSize: 0 bytes/workgroup (compile time only)
; SGPRBlocks: 0
; VGPRBlocks: 0
; NumSGPRsForWavesPerEU: 9
; NumVGPRsForWavesPerEU: 6
; Occupancy: 16
; WaveLimiterHint : 1
; COMPUTE_PGM_RSRC2:SCRATCH_EN: 0
; COMPUTE_PGM_RSRC2:USER_SGPR: 6
; COMPUTE_PGM_RSRC2:TRAP_HANDLER: 0
; COMPUTE_PGM_RSRC2:TGID_X_EN: 1
; COMPUTE_PGM_RSRC2:TGID_Y_EN: 0
; COMPUTE_PGM_RSRC2:TGID_Z_EN: 0
; COMPUTE_PGM_RSRC2:TIDIG_COMP_CNT: 0
	.section	.text._Z17warp_store_kernelILj256ELj4ELj32ELN6hipcub18WarpStoreAlgorithmE2EiEvPT3_,"axG",@progbits,_Z17warp_store_kernelILj256ELj4ELj32ELN6hipcub18WarpStoreAlgorithmE2EiEvPT3_,comdat
	.protected	_Z17warp_store_kernelILj256ELj4ELj32ELN6hipcub18WarpStoreAlgorithmE2EiEvPT3_ ; -- Begin function _Z17warp_store_kernelILj256ELj4ELj32ELN6hipcub18WarpStoreAlgorithmE2EiEvPT3_
	.globl	_Z17warp_store_kernelILj256ELj4ELj32ELN6hipcub18WarpStoreAlgorithmE2EiEvPT3_
	.p2align	8
	.type	_Z17warp_store_kernelILj256ELj4ELj32ELN6hipcub18WarpStoreAlgorithmE2EiEvPT3_,@function
_Z17warp_store_kernelILj256ELj4ELj32ELN6hipcub18WarpStoreAlgorithmE2EiEvPT3_: ; @_Z17warp_store_kernelILj256ELj4ELj32ELN6hipcub18WarpStoreAlgorithmE2EiEvPT3_
; %bb.0:
	s_load_dwordx2 s[0:1], s[4:5], 0x0
	v_lshlrev_b32_e32 v0, 2, v0
	s_lshl_b32 s2, s6, 10
	v_mov_b32_e32 v4, 0
	v_mov_b32_e32 v1, 1
	;; [unrolled: 1-line block ×3, first 2 shown]
	v_and_or_b32 v3, 0x380, v0, s2
	v_mbcnt_lo_u32_b32 v0, -1, 0
	v_lshlrev_b64 v[5:6], 2, v[3:4]
	v_lshlrev_b32_e32 v0, 4, v0
	v_mov_b32_e32 v3, 3
	s_waitcnt lgkmcnt(0)
	v_add_co_u32 v5, vcc_lo, s0, v5
	v_add_co_ci_u32_e64 v6, null, s1, v6, vcc_lo
	v_add_co_u32 v5, vcc_lo, v5, v0
	v_add_co_ci_u32_e64 v6, null, 0, v6, vcc_lo
	v_mov_b32_e32 v0, v4
	global_store_dwordx4 v[5:6], v[0:3], off
	s_endpgm
	.section	.rodata,"a",@progbits
	.p2align	6, 0x0
	.amdhsa_kernel _Z17warp_store_kernelILj256ELj4ELj32ELN6hipcub18WarpStoreAlgorithmE2EiEvPT3_
		.amdhsa_group_segment_fixed_size 0
		.amdhsa_private_segment_fixed_size 0
		.amdhsa_kernarg_size 8
		.amdhsa_user_sgpr_count 6
		.amdhsa_user_sgpr_private_segment_buffer 1
		.amdhsa_user_sgpr_dispatch_ptr 0
		.amdhsa_user_sgpr_queue_ptr 0
		.amdhsa_user_sgpr_kernarg_segment_ptr 1
		.amdhsa_user_sgpr_dispatch_id 0
		.amdhsa_user_sgpr_flat_scratch_init 0
		.amdhsa_user_sgpr_private_segment_size 0
		.amdhsa_wavefront_size32 1
		.amdhsa_uses_dynamic_stack 0
		.amdhsa_system_sgpr_private_segment_wavefront_offset 0
		.amdhsa_system_sgpr_workgroup_id_x 1
		.amdhsa_system_sgpr_workgroup_id_y 0
		.amdhsa_system_sgpr_workgroup_id_z 0
		.amdhsa_system_sgpr_workgroup_info 0
		.amdhsa_system_vgpr_workitem_id 0
		.amdhsa_next_free_vgpr 7
		.amdhsa_next_free_sgpr 7
		.amdhsa_reserve_vcc 1
		.amdhsa_reserve_flat_scratch 0
		.amdhsa_float_round_mode_32 0
		.amdhsa_float_round_mode_16_64 0
		.amdhsa_float_denorm_mode_32 3
		.amdhsa_float_denorm_mode_16_64 3
		.amdhsa_dx10_clamp 1
		.amdhsa_ieee_mode 1
		.amdhsa_fp16_overflow 0
		.amdhsa_workgroup_processor_mode 1
		.amdhsa_memory_ordered 1
		.amdhsa_forward_progress 1
		.amdhsa_shared_vgpr_count 0
		.amdhsa_exception_fp_ieee_invalid_op 0
		.amdhsa_exception_fp_denorm_src 0
		.amdhsa_exception_fp_ieee_div_zero 0
		.amdhsa_exception_fp_ieee_overflow 0
		.amdhsa_exception_fp_ieee_underflow 0
		.amdhsa_exception_fp_ieee_inexact 0
		.amdhsa_exception_int_div_zero 0
	.end_amdhsa_kernel
	.section	.text._Z17warp_store_kernelILj256ELj4ELj32ELN6hipcub18WarpStoreAlgorithmE2EiEvPT3_,"axG",@progbits,_Z17warp_store_kernelILj256ELj4ELj32ELN6hipcub18WarpStoreAlgorithmE2EiEvPT3_,comdat
.Lfunc_end2:
	.size	_Z17warp_store_kernelILj256ELj4ELj32ELN6hipcub18WarpStoreAlgorithmE2EiEvPT3_, .Lfunc_end2-_Z17warp_store_kernelILj256ELj4ELj32ELN6hipcub18WarpStoreAlgorithmE2EiEvPT3_
                                        ; -- End function
	.set _Z17warp_store_kernelILj256ELj4ELj32ELN6hipcub18WarpStoreAlgorithmE2EiEvPT3_.num_vgpr, 7
	.set _Z17warp_store_kernelILj256ELj4ELj32ELN6hipcub18WarpStoreAlgorithmE2EiEvPT3_.num_agpr, 0
	.set _Z17warp_store_kernelILj256ELj4ELj32ELN6hipcub18WarpStoreAlgorithmE2EiEvPT3_.numbered_sgpr, 7
	.set _Z17warp_store_kernelILj256ELj4ELj32ELN6hipcub18WarpStoreAlgorithmE2EiEvPT3_.num_named_barrier, 0
	.set _Z17warp_store_kernelILj256ELj4ELj32ELN6hipcub18WarpStoreAlgorithmE2EiEvPT3_.private_seg_size, 0
	.set _Z17warp_store_kernelILj256ELj4ELj32ELN6hipcub18WarpStoreAlgorithmE2EiEvPT3_.uses_vcc, 1
	.set _Z17warp_store_kernelILj256ELj4ELj32ELN6hipcub18WarpStoreAlgorithmE2EiEvPT3_.uses_flat_scratch, 0
	.set _Z17warp_store_kernelILj256ELj4ELj32ELN6hipcub18WarpStoreAlgorithmE2EiEvPT3_.has_dyn_sized_stack, 0
	.set _Z17warp_store_kernelILj256ELj4ELj32ELN6hipcub18WarpStoreAlgorithmE2EiEvPT3_.has_recursion, 0
	.set _Z17warp_store_kernelILj256ELj4ELj32ELN6hipcub18WarpStoreAlgorithmE2EiEvPT3_.has_indirect_call, 0
	.section	.AMDGPU.csdata,"",@progbits
; Kernel info:
; codeLenInByte = 116
; TotalNumSgprs: 9
; NumVgprs: 7
; ScratchSize: 0
; MemoryBound: 0
; FloatMode: 240
; IeeeMode: 1
; LDSByteSize: 0 bytes/workgroup (compile time only)
; SGPRBlocks: 0
; VGPRBlocks: 0
; NumSGPRsForWavesPerEU: 9
; NumVGPRsForWavesPerEU: 7
; Occupancy: 16
; WaveLimiterHint : 0
; COMPUTE_PGM_RSRC2:SCRATCH_EN: 0
; COMPUTE_PGM_RSRC2:USER_SGPR: 6
; COMPUTE_PGM_RSRC2:TRAP_HANDLER: 0
; COMPUTE_PGM_RSRC2:TGID_X_EN: 1
; COMPUTE_PGM_RSRC2:TGID_Y_EN: 0
; COMPUTE_PGM_RSRC2:TGID_Z_EN: 0
; COMPUTE_PGM_RSRC2:TIDIG_COMP_CNT: 0
	.section	.text._Z17warp_store_kernelILj256ELj4ELj32ELN6hipcub18WarpStoreAlgorithmE3EiEvPT3_,"axG",@progbits,_Z17warp_store_kernelILj256ELj4ELj32ELN6hipcub18WarpStoreAlgorithmE3EiEvPT3_,comdat
	.protected	_Z17warp_store_kernelILj256ELj4ELj32ELN6hipcub18WarpStoreAlgorithmE3EiEvPT3_ ; -- Begin function _Z17warp_store_kernelILj256ELj4ELj32ELN6hipcub18WarpStoreAlgorithmE3EiEvPT3_
	.globl	_Z17warp_store_kernelILj256ELj4ELj32ELN6hipcub18WarpStoreAlgorithmE3EiEvPT3_
	.p2align	8
	.type	_Z17warp_store_kernelILj256ELj4ELj32ELN6hipcub18WarpStoreAlgorithmE3EiEvPT3_,@function
_Z17warp_store_kernelILj256ELj4ELj32ELN6hipcub18WarpStoreAlgorithmE3EiEvPT3_: ; @_Z17warp_store_kernelILj256ELj4ELj32ELN6hipcub18WarpStoreAlgorithmE3EiEvPT3_
; %bb.0:
	v_mbcnt_lo_u32_b32 v6, -1, 0
	v_lshrrev_b32_e32 v4, 5, v0
	s_load_dwordx2 s[0:1], s[4:5], 0x0
	v_mov_b32_e32 v5, 0
	v_mov_b32_e32 v1, 1
	v_lshlrev_b32_e32 v0, 4, v6
	v_mov_b32_e32 v2, 2
	v_mov_b32_e32 v3, 3
	s_lshl_b32 s2, s6, 10
	v_lshl_or_b32 v7, v4, 9, v0
	v_mov_b32_e32 v0, v5
	v_lshl_or_b32 v4, v4, 7, s2
	v_mad_i32_i24 v8, v6, -12, v7
	ds_write_b128 v7, v[0:3]
	; wave barrier
	v_lshlrev_b64 v[4:5], 2, v[4:5]
	ds_read2_b32 v[0:1], v8 offset1:32
	ds_read2_b32 v[2:3], v8 offset0:64 offset1:96
	v_lshlrev_b32_e32 v6, 2, v6
	s_waitcnt lgkmcnt(0)
	v_add_co_u32 v4, vcc_lo, s0, v4
	v_add_co_ci_u32_e64 v5, null, s1, v5, vcc_lo
	v_add_co_u32 v4, vcc_lo, v4, v6
	v_add_co_ci_u32_e64 v5, null, 0, v5, vcc_lo
	global_store_dword v[4:5], v0, off
	global_store_dword v[4:5], v1, off offset:128
	global_store_dword v[4:5], v2, off offset:256
	;; [unrolled: 1-line block ×3, first 2 shown]
	s_endpgm
	.section	.rodata,"a",@progbits
	.p2align	6, 0x0
	.amdhsa_kernel _Z17warp_store_kernelILj256ELj4ELj32ELN6hipcub18WarpStoreAlgorithmE3EiEvPT3_
		.amdhsa_group_segment_fixed_size 4096
		.amdhsa_private_segment_fixed_size 0
		.amdhsa_kernarg_size 8
		.amdhsa_user_sgpr_count 6
		.amdhsa_user_sgpr_private_segment_buffer 1
		.amdhsa_user_sgpr_dispatch_ptr 0
		.amdhsa_user_sgpr_queue_ptr 0
		.amdhsa_user_sgpr_kernarg_segment_ptr 1
		.amdhsa_user_sgpr_dispatch_id 0
		.amdhsa_user_sgpr_flat_scratch_init 0
		.amdhsa_user_sgpr_private_segment_size 0
		.amdhsa_wavefront_size32 1
		.amdhsa_uses_dynamic_stack 0
		.amdhsa_system_sgpr_private_segment_wavefront_offset 0
		.amdhsa_system_sgpr_workgroup_id_x 1
		.amdhsa_system_sgpr_workgroup_id_y 0
		.amdhsa_system_sgpr_workgroup_id_z 0
		.amdhsa_system_sgpr_workgroup_info 0
		.amdhsa_system_vgpr_workitem_id 0
		.amdhsa_next_free_vgpr 9
		.amdhsa_next_free_sgpr 7
		.amdhsa_reserve_vcc 1
		.amdhsa_reserve_flat_scratch 0
		.amdhsa_float_round_mode_32 0
		.amdhsa_float_round_mode_16_64 0
		.amdhsa_float_denorm_mode_32 3
		.amdhsa_float_denorm_mode_16_64 3
		.amdhsa_dx10_clamp 1
		.amdhsa_ieee_mode 1
		.amdhsa_fp16_overflow 0
		.amdhsa_workgroup_processor_mode 1
		.amdhsa_memory_ordered 1
		.amdhsa_forward_progress 1
		.amdhsa_shared_vgpr_count 0
		.amdhsa_exception_fp_ieee_invalid_op 0
		.amdhsa_exception_fp_denorm_src 0
		.amdhsa_exception_fp_ieee_div_zero 0
		.amdhsa_exception_fp_ieee_overflow 0
		.amdhsa_exception_fp_ieee_underflow 0
		.amdhsa_exception_fp_ieee_inexact 0
		.amdhsa_exception_int_div_zero 0
	.end_amdhsa_kernel
	.section	.text._Z17warp_store_kernelILj256ELj4ELj32ELN6hipcub18WarpStoreAlgorithmE3EiEvPT3_,"axG",@progbits,_Z17warp_store_kernelILj256ELj4ELj32ELN6hipcub18WarpStoreAlgorithmE3EiEvPT3_,comdat
.Lfunc_end3:
	.size	_Z17warp_store_kernelILj256ELj4ELj32ELN6hipcub18WarpStoreAlgorithmE3EiEvPT3_, .Lfunc_end3-_Z17warp_store_kernelILj256ELj4ELj32ELN6hipcub18WarpStoreAlgorithmE3EiEvPT3_
                                        ; -- End function
	.set _Z17warp_store_kernelILj256ELj4ELj32ELN6hipcub18WarpStoreAlgorithmE3EiEvPT3_.num_vgpr, 9
	.set _Z17warp_store_kernelILj256ELj4ELj32ELN6hipcub18WarpStoreAlgorithmE3EiEvPT3_.num_agpr, 0
	.set _Z17warp_store_kernelILj256ELj4ELj32ELN6hipcub18WarpStoreAlgorithmE3EiEvPT3_.numbered_sgpr, 7
	.set _Z17warp_store_kernelILj256ELj4ELj32ELN6hipcub18WarpStoreAlgorithmE3EiEvPT3_.num_named_barrier, 0
	.set _Z17warp_store_kernelILj256ELj4ELj32ELN6hipcub18WarpStoreAlgorithmE3EiEvPT3_.private_seg_size, 0
	.set _Z17warp_store_kernelILj256ELj4ELj32ELN6hipcub18WarpStoreAlgorithmE3EiEvPT3_.uses_vcc, 1
	.set _Z17warp_store_kernelILj256ELj4ELj32ELN6hipcub18WarpStoreAlgorithmE3EiEvPT3_.uses_flat_scratch, 0
	.set _Z17warp_store_kernelILj256ELj4ELj32ELN6hipcub18WarpStoreAlgorithmE3EiEvPT3_.has_dyn_sized_stack, 0
	.set _Z17warp_store_kernelILj256ELj4ELj32ELN6hipcub18WarpStoreAlgorithmE3EiEvPT3_.has_recursion, 0
	.set _Z17warp_store_kernelILj256ELj4ELj32ELN6hipcub18WarpStoreAlgorithmE3EiEvPT3_.has_indirect_call, 0
	.section	.AMDGPU.csdata,"",@progbits
; Kernel info:
; codeLenInByte = 180
; TotalNumSgprs: 9
; NumVgprs: 9
; ScratchSize: 0
; MemoryBound: 0
; FloatMode: 240
; IeeeMode: 1
; LDSByteSize: 4096 bytes/workgroup (compile time only)
; SGPRBlocks: 0
; VGPRBlocks: 1
; NumSGPRsForWavesPerEU: 9
; NumVGPRsForWavesPerEU: 9
; Occupancy: 16
; WaveLimiterHint : 1
; COMPUTE_PGM_RSRC2:SCRATCH_EN: 0
; COMPUTE_PGM_RSRC2:USER_SGPR: 6
; COMPUTE_PGM_RSRC2:TRAP_HANDLER: 0
; COMPUTE_PGM_RSRC2:TGID_X_EN: 1
; COMPUTE_PGM_RSRC2:TGID_Y_EN: 0
; COMPUTE_PGM_RSRC2:TGID_Z_EN: 0
; COMPUTE_PGM_RSRC2:TIDIG_COMP_CNT: 0
	.section	.text._Z17warp_store_kernelILj256ELj8ELj32ELN6hipcub18WarpStoreAlgorithmE0EiEvPT3_,"axG",@progbits,_Z17warp_store_kernelILj256ELj8ELj32ELN6hipcub18WarpStoreAlgorithmE0EiEvPT3_,comdat
	.protected	_Z17warp_store_kernelILj256ELj8ELj32ELN6hipcub18WarpStoreAlgorithmE0EiEvPT3_ ; -- Begin function _Z17warp_store_kernelILj256ELj8ELj32ELN6hipcub18WarpStoreAlgorithmE0EiEvPT3_
	.globl	_Z17warp_store_kernelILj256ELj8ELj32ELN6hipcub18WarpStoreAlgorithmE0EiEvPT3_
	.p2align	8
	.type	_Z17warp_store_kernelILj256ELj8ELj32ELN6hipcub18WarpStoreAlgorithmE0EiEvPT3_,@function
_Z17warp_store_kernelILj256ELj8ELj32ELN6hipcub18WarpStoreAlgorithmE0EiEvPT3_: ; @_Z17warp_store_kernelILj256ELj8ELj32ELN6hipcub18WarpStoreAlgorithmE0EiEvPT3_
; %bb.0:
	s_load_dwordx2 s[0:1], s[4:5], 0x0
	v_lshlrev_b32_e32 v0, 3, v0
	s_lshl_b32 s2, s6, 11
	v_mov_b32_e32 v7, 0
	v_mov_b32_e32 v1, 1
	;; [unrolled: 1-line block ×3, first 2 shown]
	v_and_or_b32 v6, 0x700, v0, s2
	v_mbcnt_lo_u32_b32 v0, -1, 0
	v_mov_b32_e32 v3, 3
	v_mov_b32_e32 v4, 4
	;; [unrolled: 1-line block ×3, first 2 shown]
	v_lshlrev_b64 v[8:9], 2, v[6:7]
	v_lshlrev_b32_e32 v10, 5, v0
	v_mov_b32_e32 v0, v7
	v_mov_b32_e32 v6, 6
	;; [unrolled: 1-line block ×3, first 2 shown]
	s_waitcnt lgkmcnt(0)
	v_add_co_u32 v8, vcc_lo, s0, v8
	v_add_co_ci_u32_e64 v9, null, s1, v9, vcc_lo
	v_add_co_u32 v8, vcc_lo, v8, v10
	v_add_co_ci_u32_e64 v9, null, 0, v9, vcc_lo
	global_store_dwordx4 v[8:9], v[0:3], off
	global_store_dwordx4 v[8:9], v[4:7], off offset:16
	s_endpgm
	.section	.rodata,"a",@progbits
	.p2align	6, 0x0
	.amdhsa_kernel _Z17warp_store_kernelILj256ELj8ELj32ELN6hipcub18WarpStoreAlgorithmE0EiEvPT3_
		.amdhsa_group_segment_fixed_size 0
		.amdhsa_private_segment_fixed_size 0
		.amdhsa_kernarg_size 8
		.amdhsa_user_sgpr_count 6
		.amdhsa_user_sgpr_private_segment_buffer 1
		.amdhsa_user_sgpr_dispatch_ptr 0
		.amdhsa_user_sgpr_queue_ptr 0
		.amdhsa_user_sgpr_kernarg_segment_ptr 1
		.amdhsa_user_sgpr_dispatch_id 0
		.amdhsa_user_sgpr_flat_scratch_init 0
		.amdhsa_user_sgpr_private_segment_size 0
		.amdhsa_wavefront_size32 1
		.amdhsa_uses_dynamic_stack 0
		.amdhsa_system_sgpr_private_segment_wavefront_offset 0
		.amdhsa_system_sgpr_workgroup_id_x 1
		.amdhsa_system_sgpr_workgroup_id_y 0
		.amdhsa_system_sgpr_workgroup_id_z 0
		.amdhsa_system_sgpr_workgroup_info 0
		.amdhsa_system_vgpr_workitem_id 0
		.amdhsa_next_free_vgpr 11
		.amdhsa_next_free_sgpr 7
		.amdhsa_reserve_vcc 1
		.amdhsa_reserve_flat_scratch 0
		.amdhsa_float_round_mode_32 0
		.amdhsa_float_round_mode_16_64 0
		.amdhsa_float_denorm_mode_32 3
		.amdhsa_float_denorm_mode_16_64 3
		.amdhsa_dx10_clamp 1
		.amdhsa_ieee_mode 1
		.amdhsa_fp16_overflow 0
		.amdhsa_workgroup_processor_mode 1
		.amdhsa_memory_ordered 1
		.amdhsa_forward_progress 1
		.amdhsa_shared_vgpr_count 0
		.amdhsa_exception_fp_ieee_invalid_op 0
		.amdhsa_exception_fp_denorm_src 0
		.amdhsa_exception_fp_ieee_div_zero 0
		.amdhsa_exception_fp_ieee_overflow 0
		.amdhsa_exception_fp_ieee_underflow 0
		.amdhsa_exception_fp_ieee_inexact 0
		.amdhsa_exception_int_div_zero 0
	.end_amdhsa_kernel
	.section	.text._Z17warp_store_kernelILj256ELj8ELj32ELN6hipcub18WarpStoreAlgorithmE0EiEvPT3_,"axG",@progbits,_Z17warp_store_kernelILj256ELj8ELj32ELN6hipcub18WarpStoreAlgorithmE0EiEvPT3_,comdat
.Lfunc_end4:
	.size	_Z17warp_store_kernelILj256ELj8ELj32ELN6hipcub18WarpStoreAlgorithmE0EiEvPT3_, .Lfunc_end4-_Z17warp_store_kernelILj256ELj8ELj32ELN6hipcub18WarpStoreAlgorithmE0EiEvPT3_
                                        ; -- End function
	.set _Z17warp_store_kernelILj256ELj8ELj32ELN6hipcub18WarpStoreAlgorithmE0EiEvPT3_.num_vgpr, 11
	.set _Z17warp_store_kernelILj256ELj8ELj32ELN6hipcub18WarpStoreAlgorithmE0EiEvPT3_.num_agpr, 0
	.set _Z17warp_store_kernelILj256ELj8ELj32ELN6hipcub18WarpStoreAlgorithmE0EiEvPT3_.numbered_sgpr, 7
	.set _Z17warp_store_kernelILj256ELj8ELj32ELN6hipcub18WarpStoreAlgorithmE0EiEvPT3_.num_named_barrier, 0
	.set _Z17warp_store_kernelILj256ELj8ELj32ELN6hipcub18WarpStoreAlgorithmE0EiEvPT3_.private_seg_size, 0
	.set _Z17warp_store_kernelILj256ELj8ELj32ELN6hipcub18WarpStoreAlgorithmE0EiEvPT3_.uses_vcc, 1
	.set _Z17warp_store_kernelILj256ELj8ELj32ELN6hipcub18WarpStoreAlgorithmE0EiEvPT3_.uses_flat_scratch, 0
	.set _Z17warp_store_kernelILj256ELj8ELj32ELN6hipcub18WarpStoreAlgorithmE0EiEvPT3_.has_dyn_sized_stack, 0
	.set _Z17warp_store_kernelILj256ELj8ELj32ELN6hipcub18WarpStoreAlgorithmE0EiEvPT3_.has_recursion, 0
	.set _Z17warp_store_kernelILj256ELj8ELj32ELN6hipcub18WarpStoreAlgorithmE0EiEvPT3_.has_indirect_call, 0
	.section	.AMDGPU.csdata,"",@progbits
; Kernel info:
; codeLenInByte = 140
; TotalNumSgprs: 9
; NumVgprs: 11
; ScratchSize: 0
; MemoryBound: 0
; FloatMode: 240
; IeeeMode: 1
; LDSByteSize: 0 bytes/workgroup (compile time only)
; SGPRBlocks: 0
; VGPRBlocks: 1
; NumSGPRsForWavesPerEU: 9
; NumVGPRsForWavesPerEU: 11
; Occupancy: 16
; WaveLimiterHint : 0
; COMPUTE_PGM_RSRC2:SCRATCH_EN: 0
; COMPUTE_PGM_RSRC2:USER_SGPR: 6
; COMPUTE_PGM_RSRC2:TRAP_HANDLER: 0
; COMPUTE_PGM_RSRC2:TGID_X_EN: 1
; COMPUTE_PGM_RSRC2:TGID_Y_EN: 0
; COMPUTE_PGM_RSRC2:TGID_Z_EN: 0
; COMPUTE_PGM_RSRC2:TIDIG_COMP_CNT: 0
	.section	.text._Z17warp_store_kernelILj256ELj8ELj32ELN6hipcub18WarpStoreAlgorithmE1EiEvPT3_,"axG",@progbits,_Z17warp_store_kernelILj256ELj8ELj32ELN6hipcub18WarpStoreAlgorithmE1EiEvPT3_,comdat
	.protected	_Z17warp_store_kernelILj256ELj8ELj32ELN6hipcub18WarpStoreAlgorithmE1EiEvPT3_ ; -- Begin function _Z17warp_store_kernelILj256ELj8ELj32ELN6hipcub18WarpStoreAlgorithmE1EiEvPT3_
	.globl	_Z17warp_store_kernelILj256ELj8ELj32ELN6hipcub18WarpStoreAlgorithmE1EiEvPT3_
	.p2align	8
	.type	_Z17warp_store_kernelILj256ELj8ELj32ELN6hipcub18WarpStoreAlgorithmE1EiEvPT3_,@function
_Z17warp_store_kernelILj256ELj8ELj32ELN6hipcub18WarpStoreAlgorithmE1EiEvPT3_: ; @_Z17warp_store_kernelILj256ELj8ELj32ELN6hipcub18WarpStoreAlgorithmE1EiEvPT3_
; %bb.0:
	s_load_dwordx2 s[0:1], s[4:5], 0x0
	v_lshlrev_b32_e32 v0, 3, v0
	s_lshl_b32 s2, s6, 11
	v_mov_b32_e32 v1, 0
	v_mbcnt_lo_u32_b32 v4, -1, 0
	v_mov_b32_e32 v6, 1
	v_and_or_b32 v0, 0x700, v0, s2
	v_mov_b32_e32 v5, 2
	v_mov_b32_e32 v7, 5
	v_lshlrev_b32_e32 v4, 2, v4
	v_mov_b32_e32 v8, 6
	v_lshlrev_b64 v[2:3], 2, v[0:1]
	v_mov_b32_e32 v0, 3
	v_mov_b32_e32 v9, 7
	s_waitcnt lgkmcnt(0)
	v_add_co_u32 v2, vcc_lo, s0, v2
	v_add_co_ci_u32_e64 v3, null, s1, v3, vcc_lo
	v_add_co_u32 v2, vcc_lo, v2, v4
	v_add_co_ci_u32_e64 v3, null, 0, v3, vcc_lo
	v_mov_b32_e32 v4, 4
	global_store_dword v[2:3], v1, off
	global_store_dword v[2:3], v6, off offset:128
	global_store_dword v[2:3], v5, off offset:256
	;; [unrolled: 1-line block ×7, first 2 shown]
	s_endpgm
	.section	.rodata,"a",@progbits
	.p2align	6, 0x0
	.amdhsa_kernel _Z17warp_store_kernelILj256ELj8ELj32ELN6hipcub18WarpStoreAlgorithmE1EiEvPT3_
		.amdhsa_group_segment_fixed_size 0
		.amdhsa_private_segment_fixed_size 0
		.amdhsa_kernarg_size 8
		.amdhsa_user_sgpr_count 6
		.amdhsa_user_sgpr_private_segment_buffer 1
		.amdhsa_user_sgpr_dispatch_ptr 0
		.amdhsa_user_sgpr_queue_ptr 0
		.amdhsa_user_sgpr_kernarg_segment_ptr 1
		.amdhsa_user_sgpr_dispatch_id 0
		.amdhsa_user_sgpr_flat_scratch_init 0
		.amdhsa_user_sgpr_private_segment_size 0
		.amdhsa_wavefront_size32 1
		.amdhsa_uses_dynamic_stack 0
		.amdhsa_system_sgpr_private_segment_wavefront_offset 0
		.amdhsa_system_sgpr_workgroup_id_x 1
		.amdhsa_system_sgpr_workgroup_id_y 0
		.amdhsa_system_sgpr_workgroup_id_z 0
		.amdhsa_system_sgpr_workgroup_info 0
		.amdhsa_system_vgpr_workitem_id 0
		.amdhsa_next_free_vgpr 10
		.amdhsa_next_free_sgpr 7
		.amdhsa_reserve_vcc 1
		.amdhsa_reserve_flat_scratch 0
		.amdhsa_float_round_mode_32 0
		.amdhsa_float_round_mode_16_64 0
		.amdhsa_float_denorm_mode_32 3
		.amdhsa_float_denorm_mode_16_64 3
		.amdhsa_dx10_clamp 1
		.amdhsa_ieee_mode 1
		.amdhsa_fp16_overflow 0
		.amdhsa_workgroup_processor_mode 1
		.amdhsa_memory_ordered 1
		.amdhsa_forward_progress 1
		.amdhsa_shared_vgpr_count 0
		.amdhsa_exception_fp_ieee_invalid_op 0
		.amdhsa_exception_fp_denorm_src 0
		.amdhsa_exception_fp_ieee_div_zero 0
		.amdhsa_exception_fp_ieee_overflow 0
		.amdhsa_exception_fp_ieee_underflow 0
		.amdhsa_exception_fp_ieee_inexact 0
		.amdhsa_exception_int_div_zero 0
	.end_amdhsa_kernel
	.section	.text._Z17warp_store_kernelILj256ELj8ELj32ELN6hipcub18WarpStoreAlgorithmE1EiEvPT3_,"axG",@progbits,_Z17warp_store_kernelILj256ELj8ELj32ELN6hipcub18WarpStoreAlgorithmE1EiEvPT3_,comdat
.Lfunc_end5:
	.size	_Z17warp_store_kernelILj256ELj8ELj32ELN6hipcub18WarpStoreAlgorithmE1EiEvPT3_, .Lfunc_end5-_Z17warp_store_kernelILj256ELj8ELj32ELN6hipcub18WarpStoreAlgorithmE1EiEvPT3_
                                        ; -- End function
	.set _Z17warp_store_kernelILj256ELj8ELj32ELN6hipcub18WarpStoreAlgorithmE1EiEvPT3_.num_vgpr, 10
	.set _Z17warp_store_kernelILj256ELj8ELj32ELN6hipcub18WarpStoreAlgorithmE1EiEvPT3_.num_agpr, 0
	.set _Z17warp_store_kernelILj256ELj8ELj32ELN6hipcub18WarpStoreAlgorithmE1EiEvPT3_.numbered_sgpr, 7
	.set _Z17warp_store_kernelILj256ELj8ELj32ELN6hipcub18WarpStoreAlgorithmE1EiEvPT3_.num_named_barrier, 0
	.set _Z17warp_store_kernelILj256ELj8ELj32ELN6hipcub18WarpStoreAlgorithmE1EiEvPT3_.private_seg_size, 0
	.set _Z17warp_store_kernelILj256ELj8ELj32ELN6hipcub18WarpStoreAlgorithmE1EiEvPT3_.uses_vcc, 1
	.set _Z17warp_store_kernelILj256ELj8ELj32ELN6hipcub18WarpStoreAlgorithmE1EiEvPT3_.uses_flat_scratch, 0
	.set _Z17warp_store_kernelILj256ELj8ELj32ELN6hipcub18WarpStoreAlgorithmE1EiEvPT3_.has_dyn_sized_stack, 0
	.set _Z17warp_store_kernelILj256ELj8ELj32ELN6hipcub18WarpStoreAlgorithmE1EiEvPT3_.has_recursion, 0
	.set _Z17warp_store_kernelILj256ELj8ELj32ELN6hipcub18WarpStoreAlgorithmE1EiEvPT3_.has_indirect_call, 0
	.section	.AMDGPU.csdata,"",@progbits
; Kernel info:
; codeLenInByte = 184
; TotalNumSgprs: 9
; NumVgprs: 10
; ScratchSize: 0
; MemoryBound: 0
; FloatMode: 240
; IeeeMode: 1
; LDSByteSize: 0 bytes/workgroup (compile time only)
; SGPRBlocks: 0
; VGPRBlocks: 1
; NumSGPRsForWavesPerEU: 9
; NumVGPRsForWavesPerEU: 10
; Occupancy: 16
; WaveLimiterHint : 1
; COMPUTE_PGM_RSRC2:SCRATCH_EN: 0
; COMPUTE_PGM_RSRC2:USER_SGPR: 6
; COMPUTE_PGM_RSRC2:TRAP_HANDLER: 0
; COMPUTE_PGM_RSRC2:TGID_X_EN: 1
; COMPUTE_PGM_RSRC2:TGID_Y_EN: 0
; COMPUTE_PGM_RSRC2:TGID_Z_EN: 0
; COMPUTE_PGM_RSRC2:TIDIG_COMP_CNT: 0
	.section	.text._Z17warp_store_kernelILj256ELj8ELj32ELN6hipcub18WarpStoreAlgorithmE2EiEvPT3_,"axG",@progbits,_Z17warp_store_kernelILj256ELj8ELj32ELN6hipcub18WarpStoreAlgorithmE2EiEvPT3_,comdat
	.protected	_Z17warp_store_kernelILj256ELj8ELj32ELN6hipcub18WarpStoreAlgorithmE2EiEvPT3_ ; -- Begin function _Z17warp_store_kernelILj256ELj8ELj32ELN6hipcub18WarpStoreAlgorithmE2EiEvPT3_
	.globl	_Z17warp_store_kernelILj256ELj8ELj32ELN6hipcub18WarpStoreAlgorithmE2EiEvPT3_
	.p2align	8
	.type	_Z17warp_store_kernelILj256ELj8ELj32ELN6hipcub18WarpStoreAlgorithmE2EiEvPT3_,@function
_Z17warp_store_kernelILj256ELj8ELj32ELN6hipcub18WarpStoreAlgorithmE2EiEvPT3_: ; @_Z17warp_store_kernelILj256ELj8ELj32ELN6hipcub18WarpStoreAlgorithmE2EiEvPT3_
; %bb.0:
	s_load_dwordx2 s[0:1], s[4:5], 0x0
	v_lshlrev_b32_e32 v0, 3, v0
	s_lshl_b32 s2, s6, 11
	v_mov_b32_e32 v7, 0
	v_mov_b32_e32 v1, 1
	;; [unrolled: 1-line block ×3, first 2 shown]
	v_and_or_b32 v6, 0x700, v0, s2
	v_mbcnt_lo_u32_b32 v0, -1, 0
	v_mov_b32_e32 v3, 3
	v_mov_b32_e32 v4, 4
	;; [unrolled: 1-line block ×3, first 2 shown]
	v_lshlrev_b64 v[8:9], 2, v[6:7]
	v_lshlrev_b32_e32 v10, 5, v0
	v_mov_b32_e32 v0, v7
	v_mov_b32_e32 v6, 6
	;; [unrolled: 1-line block ×3, first 2 shown]
	s_waitcnt lgkmcnt(0)
	v_add_co_u32 v8, vcc_lo, s0, v8
	v_add_co_ci_u32_e64 v9, null, s1, v9, vcc_lo
	v_add_co_u32 v8, vcc_lo, v8, v10
	v_add_co_ci_u32_e64 v9, null, 0, v9, vcc_lo
	global_store_dwordx4 v[8:9], v[0:3], off
	global_store_dwordx4 v[8:9], v[4:7], off offset:16
	s_endpgm
	.section	.rodata,"a",@progbits
	.p2align	6, 0x0
	.amdhsa_kernel _Z17warp_store_kernelILj256ELj8ELj32ELN6hipcub18WarpStoreAlgorithmE2EiEvPT3_
		.amdhsa_group_segment_fixed_size 0
		.amdhsa_private_segment_fixed_size 0
		.amdhsa_kernarg_size 8
		.amdhsa_user_sgpr_count 6
		.amdhsa_user_sgpr_private_segment_buffer 1
		.amdhsa_user_sgpr_dispatch_ptr 0
		.amdhsa_user_sgpr_queue_ptr 0
		.amdhsa_user_sgpr_kernarg_segment_ptr 1
		.amdhsa_user_sgpr_dispatch_id 0
		.amdhsa_user_sgpr_flat_scratch_init 0
		.amdhsa_user_sgpr_private_segment_size 0
		.amdhsa_wavefront_size32 1
		.amdhsa_uses_dynamic_stack 0
		.amdhsa_system_sgpr_private_segment_wavefront_offset 0
		.amdhsa_system_sgpr_workgroup_id_x 1
		.amdhsa_system_sgpr_workgroup_id_y 0
		.amdhsa_system_sgpr_workgroup_id_z 0
		.amdhsa_system_sgpr_workgroup_info 0
		.amdhsa_system_vgpr_workitem_id 0
		.amdhsa_next_free_vgpr 11
		.amdhsa_next_free_sgpr 7
		.amdhsa_reserve_vcc 1
		.amdhsa_reserve_flat_scratch 0
		.amdhsa_float_round_mode_32 0
		.amdhsa_float_round_mode_16_64 0
		.amdhsa_float_denorm_mode_32 3
		.amdhsa_float_denorm_mode_16_64 3
		.amdhsa_dx10_clamp 1
		.amdhsa_ieee_mode 1
		.amdhsa_fp16_overflow 0
		.amdhsa_workgroup_processor_mode 1
		.amdhsa_memory_ordered 1
		.amdhsa_forward_progress 1
		.amdhsa_shared_vgpr_count 0
		.amdhsa_exception_fp_ieee_invalid_op 0
		.amdhsa_exception_fp_denorm_src 0
		.amdhsa_exception_fp_ieee_div_zero 0
		.amdhsa_exception_fp_ieee_overflow 0
		.amdhsa_exception_fp_ieee_underflow 0
		.amdhsa_exception_fp_ieee_inexact 0
		.amdhsa_exception_int_div_zero 0
	.end_amdhsa_kernel
	.section	.text._Z17warp_store_kernelILj256ELj8ELj32ELN6hipcub18WarpStoreAlgorithmE2EiEvPT3_,"axG",@progbits,_Z17warp_store_kernelILj256ELj8ELj32ELN6hipcub18WarpStoreAlgorithmE2EiEvPT3_,comdat
.Lfunc_end6:
	.size	_Z17warp_store_kernelILj256ELj8ELj32ELN6hipcub18WarpStoreAlgorithmE2EiEvPT3_, .Lfunc_end6-_Z17warp_store_kernelILj256ELj8ELj32ELN6hipcub18WarpStoreAlgorithmE2EiEvPT3_
                                        ; -- End function
	.set _Z17warp_store_kernelILj256ELj8ELj32ELN6hipcub18WarpStoreAlgorithmE2EiEvPT3_.num_vgpr, 11
	.set _Z17warp_store_kernelILj256ELj8ELj32ELN6hipcub18WarpStoreAlgorithmE2EiEvPT3_.num_agpr, 0
	.set _Z17warp_store_kernelILj256ELj8ELj32ELN6hipcub18WarpStoreAlgorithmE2EiEvPT3_.numbered_sgpr, 7
	.set _Z17warp_store_kernelILj256ELj8ELj32ELN6hipcub18WarpStoreAlgorithmE2EiEvPT3_.num_named_barrier, 0
	.set _Z17warp_store_kernelILj256ELj8ELj32ELN6hipcub18WarpStoreAlgorithmE2EiEvPT3_.private_seg_size, 0
	.set _Z17warp_store_kernelILj256ELj8ELj32ELN6hipcub18WarpStoreAlgorithmE2EiEvPT3_.uses_vcc, 1
	.set _Z17warp_store_kernelILj256ELj8ELj32ELN6hipcub18WarpStoreAlgorithmE2EiEvPT3_.uses_flat_scratch, 0
	.set _Z17warp_store_kernelILj256ELj8ELj32ELN6hipcub18WarpStoreAlgorithmE2EiEvPT3_.has_dyn_sized_stack, 0
	.set _Z17warp_store_kernelILj256ELj8ELj32ELN6hipcub18WarpStoreAlgorithmE2EiEvPT3_.has_recursion, 0
	.set _Z17warp_store_kernelILj256ELj8ELj32ELN6hipcub18WarpStoreAlgorithmE2EiEvPT3_.has_indirect_call, 0
	.section	.AMDGPU.csdata,"",@progbits
; Kernel info:
; codeLenInByte = 140
; TotalNumSgprs: 9
; NumVgprs: 11
; ScratchSize: 0
; MemoryBound: 0
; FloatMode: 240
; IeeeMode: 1
; LDSByteSize: 0 bytes/workgroup (compile time only)
; SGPRBlocks: 0
; VGPRBlocks: 1
; NumSGPRsForWavesPerEU: 9
; NumVGPRsForWavesPerEU: 11
; Occupancy: 16
; WaveLimiterHint : 0
; COMPUTE_PGM_RSRC2:SCRATCH_EN: 0
; COMPUTE_PGM_RSRC2:USER_SGPR: 6
; COMPUTE_PGM_RSRC2:TRAP_HANDLER: 0
; COMPUTE_PGM_RSRC2:TGID_X_EN: 1
; COMPUTE_PGM_RSRC2:TGID_Y_EN: 0
; COMPUTE_PGM_RSRC2:TGID_Z_EN: 0
; COMPUTE_PGM_RSRC2:TIDIG_COMP_CNT: 0
	.section	.text._Z17warp_store_kernelILj256ELj8ELj32ELN6hipcub18WarpStoreAlgorithmE3EiEvPT3_,"axG",@progbits,_Z17warp_store_kernelILj256ELj8ELj32ELN6hipcub18WarpStoreAlgorithmE3EiEvPT3_,comdat
	.protected	_Z17warp_store_kernelILj256ELj8ELj32ELN6hipcub18WarpStoreAlgorithmE3EiEvPT3_ ; -- Begin function _Z17warp_store_kernelILj256ELj8ELj32ELN6hipcub18WarpStoreAlgorithmE3EiEvPT3_
	.globl	_Z17warp_store_kernelILj256ELj8ELj32ELN6hipcub18WarpStoreAlgorithmE3EiEvPT3_
	.p2align	8
	.type	_Z17warp_store_kernelILj256ELj8ELj32ELN6hipcub18WarpStoreAlgorithmE3EiEvPT3_,@function
_Z17warp_store_kernelILj256ELj8ELj32ELN6hipcub18WarpStoreAlgorithmE3EiEvPT3_: ; @_Z17warp_store_kernelILj256ELj8ELj32ELN6hipcub18WarpStoreAlgorithmE3EiEvPT3_
; %bb.0:
	v_mbcnt_lo_u32_b32 v10, -1, 0
	v_lshrrev_b32_e32 v8, 5, v0
	s_load_dwordx2 s[0:1], s[4:5], 0x0
	v_mov_b32_e32 v9, 0
	s_lshl_b32 s2, s6, 11
	v_lshlrev_b32_e32 v0, 5, v10
	v_mov_b32_e32 v1, 1
	v_mov_b32_e32 v2, 2
	;; [unrolled: 1-line block ×4, first 2 shown]
	v_lshl_or_b32 v11, v8, 10, v0
	v_mov_b32_e32 v0, v9
	v_lshl_or_b32 v8, v8, 8, s2
	v_mov_b32_e32 v5, 5
	v_mov_b32_e32 v6, 6
	v_mad_i32_i24 v12, 0xffffffe4, v10, v11
	v_mov_b32_e32 v7, 7
	ds_write_b128 v11, v[0:3]
	ds_write_b128 v11, v[4:7] offset:16
	; wave barrier
	ds_read2_b32 v[0:1], v12 offset1:32
	v_lshlrev_b64 v[2:3], 2, v[8:9]
	ds_read2_b32 v[4:5], v12 offset0:64 offset1:96
	ds_read2_b32 v[6:7], v12 offset0:128 offset1:160
	;; [unrolled: 1-line block ×3, first 2 shown]
	v_lshlrev_b32_e32 v10, 2, v10
	s_waitcnt lgkmcnt(0)
	v_add_co_u32 v2, vcc_lo, s0, v2
	v_add_co_ci_u32_e64 v3, null, s1, v3, vcc_lo
	v_add_co_u32 v2, vcc_lo, v2, v10
	v_add_co_ci_u32_e64 v3, null, 0, v3, vcc_lo
	global_store_dword v[2:3], v0, off
	global_store_dword v[2:3], v1, off offset:128
	global_store_dword v[2:3], v4, off offset:256
	;; [unrolled: 1-line block ×7, first 2 shown]
	s_endpgm
	.section	.rodata,"a",@progbits
	.p2align	6, 0x0
	.amdhsa_kernel _Z17warp_store_kernelILj256ELj8ELj32ELN6hipcub18WarpStoreAlgorithmE3EiEvPT3_
		.amdhsa_group_segment_fixed_size 8192
		.amdhsa_private_segment_fixed_size 0
		.amdhsa_kernarg_size 8
		.amdhsa_user_sgpr_count 6
		.amdhsa_user_sgpr_private_segment_buffer 1
		.amdhsa_user_sgpr_dispatch_ptr 0
		.amdhsa_user_sgpr_queue_ptr 0
		.amdhsa_user_sgpr_kernarg_segment_ptr 1
		.amdhsa_user_sgpr_dispatch_id 0
		.amdhsa_user_sgpr_flat_scratch_init 0
		.amdhsa_user_sgpr_private_segment_size 0
		.amdhsa_wavefront_size32 1
		.amdhsa_uses_dynamic_stack 0
		.amdhsa_system_sgpr_private_segment_wavefront_offset 0
		.amdhsa_system_sgpr_workgroup_id_x 1
		.amdhsa_system_sgpr_workgroup_id_y 0
		.amdhsa_system_sgpr_workgroup_id_z 0
		.amdhsa_system_sgpr_workgroup_info 0
		.amdhsa_system_vgpr_workitem_id 0
		.amdhsa_next_free_vgpr 13
		.amdhsa_next_free_sgpr 7
		.amdhsa_reserve_vcc 1
		.amdhsa_reserve_flat_scratch 0
		.amdhsa_float_round_mode_32 0
		.amdhsa_float_round_mode_16_64 0
		.amdhsa_float_denorm_mode_32 3
		.amdhsa_float_denorm_mode_16_64 3
		.amdhsa_dx10_clamp 1
		.amdhsa_ieee_mode 1
		.amdhsa_fp16_overflow 0
		.amdhsa_workgroup_processor_mode 1
		.amdhsa_memory_ordered 1
		.amdhsa_forward_progress 1
		.amdhsa_shared_vgpr_count 0
		.amdhsa_exception_fp_ieee_invalid_op 0
		.amdhsa_exception_fp_denorm_src 0
		.amdhsa_exception_fp_ieee_div_zero 0
		.amdhsa_exception_fp_ieee_overflow 0
		.amdhsa_exception_fp_ieee_underflow 0
		.amdhsa_exception_fp_ieee_inexact 0
		.amdhsa_exception_int_div_zero 0
	.end_amdhsa_kernel
	.section	.text._Z17warp_store_kernelILj256ELj8ELj32ELN6hipcub18WarpStoreAlgorithmE3EiEvPT3_,"axG",@progbits,_Z17warp_store_kernelILj256ELj8ELj32ELN6hipcub18WarpStoreAlgorithmE3EiEvPT3_,comdat
.Lfunc_end7:
	.size	_Z17warp_store_kernelILj256ELj8ELj32ELN6hipcub18WarpStoreAlgorithmE3EiEvPT3_, .Lfunc_end7-_Z17warp_store_kernelILj256ELj8ELj32ELN6hipcub18WarpStoreAlgorithmE3EiEvPT3_
                                        ; -- End function
	.set _Z17warp_store_kernelILj256ELj8ELj32ELN6hipcub18WarpStoreAlgorithmE3EiEvPT3_.num_vgpr, 13
	.set _Z17warp_store_kernelILj256ELj8ELj32ELN6hipcub18WarpStoreAlgorithmE3EiEvPT3_.num_agpr, 0
	.set _Z17warp_store_kernelILj256ELj8ELj32ELN6hipcub18WarpStoreAlgorithmE3EiEvPT3_.numbered_sgpr, 7
	.set _Z17warp_store_kernelILj256ELj8ELj32ELN6hipcub18WarpStoreAlgorithmE3EiEvPT3_.num_named_barrier, 0
	.set _Z17warp_store_kernelILj256ELj8ELj32ELN6hipcub18WarpStoreAlgorithmE3EiEvPT3_.private_seg_size, 0
	.set _Z17warp_store_kernelILj256ELj8ELj32ELN6hipcub18WarpStoreAlgorithmE3EiEvPT3_.uses_vcc, 1
	.set _Z17warp_store_kernelILj256ELj8ELj32ELN6hipcub18WarpStoreAlgorithmE3EiEvPT3_.uses_flat_scratch, 0
	.set _Z17warp_store_kernelILj256ELj8ELj32ELN6hipcub18WarpStoreAlgorithmE3EiEvPT3_.has_dyn_sized_stack, 0
	.set _Z17warp_store_kernelILj256ELj8ELj32ELN6hipcub18WarpStoreAlgorithmE3EiEvPT3_.has_recursion, 0
	.set _Z17warp_store_kernelILj256ELj8ELj32ELN6hipcub18WarpStoreAlgorithmE3EiEvPT3_.has_indirect_call, 0
	.section	.AMDGPU.csdata,"",@progbits
; Kernel info:
; codeLenInByte = 256
; TotalNumSgprs: 9
; NumVgprs: 13
; ScratchSize: 0
; MemoryBound: 1
; FloatMode: 240
; IeeeMode: 1
; LDSByteSize: 8192 bytes/workgroup (compile time only)
; SGPRBlocks: 0
; VGPRBlocks: 1
; NumSGPRsForWavesPerEU: 9
; NumVGPRsForWavesPerEU: 13
; Occupancy: 16
; WaveLimiterHint : 1
; COMPUTE_PGM_RSRC2:SCRATCH_EN: 0
; COMPUTE_PGM_RSRC2:USER_SGPR: 6
; COMPUTE_PGM_RSRC2:TRAP_HANDLER: 0
; COMPUTE_PGM_RSRC2:TGID_X_EN: 1
; COMPUTE_PGM_RSRC2:TGID_Y_EN: 0
; COMPUTE_PGM_RSRC2:TGID_Z_EN: 0
; COMPUTE_PGM_RSRC2:TIDIG_COMP_CNT: 0
	.section	.text._Z17warp_store_kernelILj256ELj16ELj32ELN6hipcub18WarpStoreAlgorithmE0EiEvPT3_,"axG",@progbits,_Z17warp_store_kernelILj256ELj16ELj32ELN6hipcub18WarpStoreAlgorithmE0EiEvPT3_,comdat
	.protected	_Z17warp_store_kernelILj256ELj16ELj32ELN6hipcub18WarpStoreAlgorithmE0EiEvPT3_ ; -- Begin function _Z17warp_store_kernelILj256ELj16ELj32ELN6hipcub18WarpStoreAlgorithmE0EiEvPT3_
	.globl	_Z17warp_store_kernelILj256ELj16ELj32ELN6hipcub18WarpStoreAlgorithmE0EiEvPT3_
	.p2align	8
	.type	_Z17warp_store_kernelILj256ELj16ELj32ELN6hipcub18WarpStoreAlgorithmE0EiEvPT3_,@function
_Z17warp_store_kernelILj256ELj16ELj32ELN6hipcub18WarpStoreAlgorithmE0EiEvPT3_: ; @_Z17warp_store_kernelILj256ELj16ELj32ELN6hipcub18WarpStoreAlgorithmE0EiEvPT3_
; %bb.0:
	s_load_dwordx2 s[0:1], s[4:5], 0x0
	v_lshlrev_b32_e32 v0, 4, v0
	s_lshl_b32 s2, s6, 12
	v_mov_b32_e32 v9, 0
	v_mbcnt_lo_u32_b32 v12, -1, 0
	v_mov_b32_e32 v1, 1
	v_and_or_b32 v8, 0xe00, v0, s2
	v_mov_b32_e32 v2, 2
	v_mov_b32_e32 v3, 3
	v_lshlrev_b32_e32 v12, 6, v12
	v_mov_b32_e32 v0, v9
	v_lshlrev_b64 v[10:11], 2, v[8:9]
	v_mov_b32_e32 v4, 4
	v_mov_b32_e32 v5, 5
	;; [unrolled: 1-line block ×8, first 2 shown]
	s_waitcnt lgkmcnt(0)
	v_add_co_u32 v10, vcc_lo, s0, v10
	v_add_co_ci_u32_e64 v11, null, s1, v11, vcc_lo
	v_mov_b32_e32 v15, 15
	v_add_co_u32 v16, vcc_lo, v10, v12
	v_add_co_ci_u32_e64 v17, null, 0, v11, vcc_lo
	v_mov_b32_e32 v10, 10
	v_mov_b32_e32 v11, 11
	;; [unrolled: 1-line block ×3, first 2 shown]
	global_store_dwordx4 v[16:17], v[0:3], off
	global_store_dwordx4 v[16:17], v[4:7], off offset:16
	global_store_dwordx4 v[16:17], v[8:11], off offset:32
	global_store_dwordx4 v[16:17], v[12:15], off offset:48
	s_endpgm
	.section	.rodata,"a",@progbits
	.p2align	6, 0x0
	.amdhsa_kernel _Z17warp_store_kernelILj256ELj16ELj32ELN6hipcub18WarpStoreAlgorithmE0EiEvPT3_
		.amdhsa_group_segment_fixed_size 0
		.amdhsa_private_segment_fixed_size 0
		.amdhsa_kernarg_size 8
		.amdhsa_user_sgpr_count 6
		.amdhsa_user_sgpr_private_segment_buffer 1
		.amdhsa_user_sgpr_dispatch_ptr 0
		.amdhsa_user_sgpr_queue_ptr 0
		.amdhsa_user_sgpr_kernarg_segment_ptr 1
		.amdhsa_user_sgpr_dispatch_id 0
		.amdhsa_user_sgpr_flat_scratch_init 0
		.amdhsa_user_sgpr_private_segment_size 0
		.amdhsa_wavefront_size32 1
		.amdhsa_uses_dynamic_stack 0
		.amdhsa_system_sgpr_private_segment_wavefront_offset 0
		.amdhsa_system_sgpr_workgroup_id_x 1
		.amdhsa_system_sgpr_workgroup_id_y 0
		.amdhsa_system_sgpr_workgroup_id_z 0
		.amdhsa_system_sgpr_workgroup_info 0
		.amdhsa_system_vgpr_workitem_id 0
		.amdhsa_next_free_vgpr 18
		.amdhsa_next_free_sgpr 7
		.amdhsa_reserve_vcc 1
		.amdhsa_reserve_flat_scratch 0
		.amdhsa_float_round_mode_32 0
		.amdhsa_float_round_mode_16_64 0
		.amdhsa_float_denorm_mode_32 3
		.amdhsa_float_denorm_mode_16_64 3
		.amdhsa_dx10_clamp 1
		.amdhsa_ieee_mode 1
		.amdhsa_fp16_overflow 0
		.amdhsa_workgroup_processor_mode 1
		.amdhsa_memory_ordered 1
		.amdhsa_forward_progress 1
		.amdhsa_shared_vgpr_count 0
		.amdhsa_exception_fp_ieee_invalid_op 0
		.amdhsa_exception_fp_denorm_src 0
		.amdhsa_exception_fp_ieee_div_zero 0
		.amdhsa_exception_fp_ieee_overflow 0
		.amdhsa_exception_fp_ieee_underflow 0
		.amdhsa_exception_fp_ieee_inexact 0
		.amdhsa_exception_int_div_zero 0
	.end_amdhsa_kernel
	.section	.text._Z17warp_store_kernelILj256ELj16ELj32ELN6hipcub18WarpStoreAlgorithmE0EiEvPT3_,"axG",@progbits,_Z17warp_store_kernelILj256ELj16ELj32ELN6hipcub18WarpStoreAlgorithmE0EiEvPT3_,comdat
.Lfunc_end8:
	.size	_Z17warp_store_kernelILj256ELj16ELj32ELN6hipcub18WarpStoreAlgorithmE0EiEvPT3_, .Lfunc_end8-_Z17warp_store_kernelILj256ELj16ELj32ELN6hipcub18WarpStoreAlgorithmE0EiEvPT3_
                                        ; -- End function
	.set _Z17warp_store_kernelILj256ELj16ELj32ELN6hipcub18WarpStoreAlgorithmE0EiEvPT3_.num_vgpr, 18
	.set _Z17warp_store_kernelILj256ELj16ELj32ELN6hipcub18WarpStoreAlgorithmE0EiEvPT3_.num_agpr, 0
	.set _Z17warp_store_kernelILj256ELj16ELj32ELN6hipcub18WarpStoreAlgorithmE0EiEvPT3_.numbered_sgpr, 7
	.set _Z17warp_store_kernelILj256ELj16ELj32ELN6hipcub18WarpStoreAlgorithmE0EiEvPT3_.num_named_barrier, 0
	.set _Z17warp_store_kernelILj256ELj16ELj32ELN6hipcub18WarpStoreAlgorithmE0EiEvPT3_.private_seg_size, 0
	.set _Z17warp_store_kernelILj256ELj16ELj32ELN6hipcub18WarpStoreAlgorithmE0EiEvPT3_.uses_vcc, 1
	.set _Z17warp_store_kernelILj256ELj16ELj32ELN6hipcub18WarpStoreAlgorithmE0EiEvPT3_.uses_flat_scratch, 0
	.set _Z17warp_store_kernelILj256ELj16ELj32ELN6hipcub18WarpStoreAlgorithmE0EiEvPT3_.has_dyn_sized_stack, 0
	.set _Z17warp_store_kernelILj256ELj16ELj32ELN6hipcub18WarpStoreAlgorithmE0EiEvPT3_.has_recursion, 0
	.set _Z17warp_store_kernelILj256ELj16ELj32ELN6hipcub18WarpStoreAlgorithmE0EiEvPT3_.has_indirect_call, 0
	.section	.AMDGPU.csdata,"",@progbits
; Kernel info:
; codeLenInByte = 188
; TotalNumSgprs: 9
; NumVgprs: 18
; ScratchSize: 0
; MemoryBound: 1
; FloatMode: 240
; IeeeMode: 1
; LDSByteSize: 0 bytes/workgroup (compile time only)
; SGPRBlocks: 0
; VGPRBlocks: 2
; NumSGPRsForWavesPerEU: 9
; NumVGPRsForWavesPerEU: 18
; Occupancy: 16
; WaveLimiterHint : 1
; COMPUTE_PGM_RSRC2:SCRATCH_EN: 0
; COMPUTE_PGM_RSRC2:USER_SGPR: 6
; COMPUTE_PGM_RSRC2:TRAP_HANDLER: 0
; COMPUTE_PGM_RSRC2:TGID_X_EN: 1
; COMPUTE_PGM_RSRC2:TGID_Y_EN: 0
; COMPUTE_PGM_RSRC2:TGID_Z_EN: 0
; COMPUTE_PGM_RSRC2:TIDIG_COMP_CNT: 0
	.section	.text._Z17warp_store_kernelILj256ELj16ELj32ELN6hipcub18WarpStoreAlgorithmE1EiEvPT3_,"axG",@progbits,_Z17warp_store_kernelILj256ELj16ELj32ELN6hipcub18WarpStoreAlgorithmE1EiEvPT3_,comdat
	.protected	_Z17warp_store_kernelILj256ELj16ELj32ELN6hipcub18WarpStoreAlgorithmE1EiEvPT3_ ; -- Begin function _Z17warp_store_kernelILj256ELj16ELj32ELN6hipcub18WarpStoreAlgorithmE1EiEvPT3_
	.globl	_Z17warp_store_kernelILj256ELj16ELj32ELN6hipcub18WarpStoreAlgorithmE1EiEvPT3_
	.p2align	8
	.type	_Z17warp_store_kernelILj256ELj16ELj32ELN6hipcub18WarpStoreAlgorithmE1EiEvPT3_,@function
_Z17warp_store_kernelILj256ELj16ELj32ELN6hipcub18WarpStoreAlgorithmE1EiEvPT3_: ; @_Z17warp_store_kernelILj256ELj16ELj32ELN6hipcub18WarpStoreAlgorithmE1EiEvPT3_
; %bb.0:
	s_load_dwordx2 s[0:1], s[4:5], 0x0
	v_lshlrev_b32_e32 v0, 4, v0
	s_lshl_b32 s2, s6, 12
	v_mov_b32_e32 v1, 0
	v_mbcnt_lo_u32_b32 v4, -1, 0
	v_mov_b32_e32 v6, 1
	v_and_or_b32 v0, 0xe00, v0, s2
	v_mov_b32_e32 v5, 2
	v_mov_b32_e32 v8, 6
	v_lshlrev_b32_e32 v4, 2, v4
	v_mov_b32_e32 v7, 3
	v_lshlrev_b64 v[2:3], 2, v[0:1]
	v_mov_b32_e32 v9, 7
	v_mov_b32_e32 v0, 4
	;; [unrolled: 1-line block ×3, first 2 shown]
	s_waitcnt lgkmcnt(0)
	v_add_co_u32 v2, vcc_lo, s0, v2
	v_add_co_ci_u32_e64 v3, null, s1, v3, vcc_lo
	v_add_co_u32 v2, vcc_lo, v2, v4
	v_add_co_ci_u32_e64 v3, null, 0, v3, vcc_lo
	v_mov_b32_e32 v4, 5
	global_store_dword v[2:3], v1, off
	global_store_dword v[2:3], v6, off offset:128
	global_store_dword v[2:3], v5, off offset:256
	;; [unrolled: 1-line block ×5, first 2 shown]
	v_mov_b32_e32 v0, 9
	v_mov_b32_e32 v1, 10
	global_store_dword v[2:3], v8, off offset:768
	global_store_dword v[2:3], v9, off offset:896
	;; [unrolled: 1-line block ×5, first 2 shown]
	v_mov_b32_e32 v0, 11
	v_mov_b32_e32 v1, 12
	v_mov_b32_e32 v4, 13
	v_mov_b32_e32 v5, 14
	v_mov_b32_e32 v6, 15
	global_store_dword v[2:3], v0, off offset:1408
	global_store_dword v[2:3], v1, off offset:1536
	;; [unrolled: 1-line block ×5, first 2 shown]
	s_endpgm
	.section	.rodata,"a",@progbits
	.p2align	6, 0x0
	.amdhsa_kernel _Z17warp_store_kernelILj256ELj16ELj32ELN6hipcub18WarpStoreAlgorithmE1EiEvPT3_
		.amdhsa_group_segment_fixed_size 0
		.amdhsa_private_segment_fixed_size 0
		.amdhsa_kernarg_size 8
		.amdhsa_user_sgpr_count 6
		.amdhsa_user_sgpr_private_segment_buffer 1
		.amdhsa_user_sgpr_dispatch_ptr 0
		.amdhsa_user_sgpr_queue_ptr 0
		.amdhsa_user_sgpr_kernarg_segment_ptr 1
		.amdhsa_user_sgpr_dispatch_id 0
		.amdhsa_user_sgpr_flat_scratch_init 0
		.amdhsa_user_sgpr_private_segment_size 0
		.amdhsa_wavefront_size32 1
		.amdhsa_uses_dynamic_stack 0
		.amdhsa_system_sgpr_private_segment_wavefront_offset 0
		.amdhsa_system_sgpr_workgroup_id_x 1
		.amdhsa_system_sgpr_workgroup_id_y 0
		.amdhsa_system_sgpr_workgroup_id_z 0
		.amdhsa_system_sgpr_workgroup_info 0
		.amdhsa_system_vgpr_workitem_id 0
		.amdhsa_next_free_vgpr 11
		.amdhsa_next_free_sgpr 7
		.amdhsa_reserve_vcc 1
		.amdhsa_reserve_flat_scratch 0
		.amdhsa_float_round_mode_32 0
		.amdhsa_float_round_mode_16_64 0
		.amdhsa_float_denorm_mode_32 3
		.amdhsa_float_denorm_mode_16_64 3
		.amdhsa_dx10_clamp 1
		.amdhsa_ieee_mode 1
		.amdhsa_fp16_overflow 0
		.amdhsa_workgroup_processor_mode 1
		.amdhsa_memory_ordered 1
		.amdhsa_forward_progress 1
		.amdhsa_shared_vgpr_count 0
		.amdhsa_exception_fp_ieee_invalid_op 0
		.amdhsa_exception_fp_denorm_src 0
		.amdhsa_exception_fp_ieee_div_zero 0
		.amdhsa_exception_fp_ieee_overflow 0
		.amdhsa_exception_fp_ieee_underflow 0
		.amdhsa_exception_fp_ieee_inexact 0
		.amdhsa_exception_int_div_zero 0
	.end_amdhsa_kernel
	.section	.text._Z17warp_store_kernelILj256ELj16ELj32ELN6hipcub18WarpStoreAlgorithmE1EiEvPT3_,"axG",@progbits,_Z17warp_store_kernelILj256ELj16ELj32ELN6hipcub18WarpStoreAlgorithmE1EiEvPT3_,comdat
.Lfunc_end9:
	.size	_Z17warp_store_kernelILj256ELj16ELj32ELN6hipcub18WarpStoreAlgorithmE1EiEvPT3_, .Lfunc_end9-_Z17warp_store_kernelILj256ELj16ELj32ELN6hipcub18WarpStoreAlgorithmE1EiEvPT3_
                                        ; -- End function
	.set _Z17warp_store_kernelILj256ELj16ELj32ELN6hipcub18WarpStoreAlgorithmE1EiEvPT3_.num_vgpr, 11
	.set _Z17warp_store_kernelILj256ELj16ELj32ELN6hipcub18WarpStoreAlgorithmE1EiEvPT3_.num_agpr, 0
	.set _Z17warp_store_kernelILj256ELj16ELj32ELN6hipcub18WarpStoreAlgorithmE1EiEvPT3_.numbered_sgpr, 7
	.set _Z17warp_store_kernelILj256ELj16ELj32ELN6hipcub18WarpStoreAlgorithmE1EiEvPT3_.num_named_barrier, 0
	.set _Z17warp_store_kernelILj256ELj16ELj32ELN6hipcub18WarpStoreAlgorithmE1EiEvPT3_.private_seg_size, 0
	.set _Z17warp_store_kernelILj256ELj16ELj32ELN6hipcub18WarpStoreAlgorithmE1EiEvPT3_.uses_vcc, 1
	.set _Z17warp_store_kernelILj256ELj16ELj32ELN6hipcub18WarpStoreAlgorithmE1EiEvPT3_.uses_flat_scratch, 0
	.set _Z17warp_store_kernelILj256ELj16ELj32ELN6hipcub18WarpStoreAlgorithmE1EiEvPT3_.has_dyn_sized_stack, 0
	.set _Z17warp_store_kernelILj256ELj16ELj32ELN6hipcub18WarpStoreAlgorithmE1EiEvPT3_.has_recursion, 0
	.set _Z17warp_store_kernelILj256ELj16ELj32ELN6hipcub18WarpStoreAlgorithmE1EiEvPT3_.has_indirect_call, 0
	.section	.AMDGPU.csdata,"",@progbits
; Kernel info:
; codeLenInByte = 280
; TotalNumSgprs: 9
; NumVgprs: 11
; ScratchSize: 0
; MemoryBound: 1
; FloatMode: 240
; IeeeMode: 1
; LDSByteSize: 0 bytes/workgroup (compile time only)
; SGPRBlocks: 0
; VGPRBlocks: 1
; NumSGPRsForWavesPerEU: 9
; NumVGPRsForWavesPerEU: 11
; Occupancy: 16
; WaveLimiterHint : 1
; COMPUTE_PGM_RSRC2:SCRATCH_EN: 0
; COMPUTE_PGM_RSRC2:USER_SGPR: 6
; COMPUTE_PGM_RSRC2:TRAP_HANDLER: 0
; COMPUTE_PGM_RSRC2:TGID_X_EN: 1
; COMPUTE_PGM_RSRC2:TGID_Y_EN: 0
; COMPUTE_PGM_RSRC2:TGID_Z_EN: 0
; COMPUTE_PGM_RSRC2:TIDIG_COMP_CNT: 0
	.section	.text._Z17warp_store_kernelILj256ELj16ELj32ELN6hipcub18WarpStoreAlgorithmE2EiEvPT3_,"axG",@progbits,_Z17warp_store_kernelILj256ELj16ELj32ELN6hipcub18WarpStoreAlgorithmE2EiEvPT3_,comdat
	.protected	_Z17warp_store_kernelILj256ELj16ELj32ELN6hipcub18WarpStoreAlgorithmE2EiEvPT3_ ; -- Begin function _Z17warp_store_kernelILj256ELj16ELj32ELN6hipcub18WarpStoreAlgorithmE2EiEvPT3_
	.globl	_Z17warp_store_kernelILj256ELj16ELj32ELN6hipcub18WarpStoreAlgorithmE2EiEvPT3_
	.p2align	8
	.type	_Z17warp_store_kernelILj256ELj16ELj32ELN6hipcub18WarpStoreAlgorithmE2EiEvPT3_,@function
_Z17warp_store_kernelILj256ELj16ELj32ELN6hipcub18WarpStoreAlgorithmE2EiEvPT3_: ; @_Z17warp_store_kernelILj256ELj16ELj32ELN6hipcub18WarpStoreAlgorithmE2EiEvPT3_
; %bb.0:
	s_load_dwordx2 s[0:1], s[4:5], 0x0
	v_lshlrev_b32_e32 v0, 4, v0
	s_lshl_b32 s2, s6, 12
	v_mov_b32_e32 v9, 0
	v_mbcnt_lo_u32_b32 v12, -1, 0
	v_mov_b32_e32 v1, 1
	v_and_or_b32 v8, 0xe00, v0, s2
	v_mov_b32_e32 v2, 2
	v_mov_b32_e32 v3, 3
	v_lshlrev_b32_e32 v12, 6, v12
	v_mov_b32_e32 v0, v9
	v_lshlrev_b64 v[10:11], 2, v[8:9]
	v_mov_b32_e32 v4, 4
	v_mov_b32_e32 v5, 5
	;; [unrolled: 1-line block ×8, first 2 shown]
	s_waitcnt lgkmcnt(0)
	v_add_co_u32 v10, vcc_lo, s0, v10
	v_add_co_ci_u32_e64 v11, null, s1, v11, vcc_lo
	v_mov_b32_e32 v15, 15
	v_add_co_u32 v16, vcc_lo, v10, v12
	v_add_co_ci_u32_e64 v17, null, 0, v11, vcc_lo
	v_mov_b32_e32 v10, 10
	v_mov_b32_e32 v11, 11
	v_mov_b32_e32 v12, 12
	global_store_dwordx4 v[16:17], v[0:3], off
	global_store_dwordx4 v[16:17], v[4:7], off offset:16
	global_store_dwordx4 v[16:17], v[8:11], off offset:32
	;; [unrolled: 1-line block ×3, first 2 shown]
	s_endpgm
	.section	.rodata,"a",@progbits
	.p2align	6, 0x0
	.amdhsa_kernel _Z17warp_store_kernelILj256ELj16ELj32ELN6hipcub18WarpStoreAlgorithmE2EiEvPT3_
		.amdhsa_group_segment_fixed_size 0
		.amdhsa_private_segment_fixed_size 0
		.amdhsa_kernarg_size 8
		.amdhsa_user_sgpr_count 6
		.amdhsa_user_sgpr_private_segment_buffer 1
		.amdhsa_user_sgpr_dispatch_ptr 0
		.amdhsa_user_sgpr_queue_ptr 0
		.amdhsa_user_sgpr_kernarg_segment_ptr 1
		.amdhsa_user_sgpr_dispatch_id 0
		.amdhsa_user_sgpr_flat_scratch_init 0
		.amdhsa_user_sgpr_private_segment_size 0
		.amdhsa_wavefront_size32 1
		.amdhsa_uses_dynamic_stack 0
		.amdhsa_system_sgpr_private_segment_wavefront_offset 0
		.amdhsa_system_sgpr_workgroup_id_x 1
		.amdhsa_system_sgpr_workgroup_id_y 0
		.amdhsa_system_sgpr_workgroup_id_z 0
		.amdhsa_system_sgpr_workgroup_info 0
		.amdhsa_system_vgpr_workitem_id 0
		.amdhsa_next_free_vgpr 18
		.amdhsa_next_free_sgpr 7
		.amdhsa_reserve_vcc 1
		.amdhsa_reserve_flat_scratch 0
		.amdhsa_float_round_mode_32 0
		.amdhsa_float_round_mode_16_64 0
		.amdhsa_float_denorm_mode_32 3
		.amdhsa_float_denorm_mode_16_64 3
		.amdhsa_dx10_clamp 1
		.amdhsa_ieee_mode 1
		.amdhsa_fp16_overflow 0
		.amdhsa_workgroup_processor_mode 1
		.amdhsa_memory_ordered 1
		.amdhsa_forward_progress 1
		.amdhsa_shared_vgpr_count 0
		.amdhsa_exception_fp_ieee_invalid_op 0
		.amdhsa_exception_fp_denorm_src 0
		.amdhsa_exception_fp_ieee_div_zero 0
		.amdhsa_exception_fp_ieee_overflow 0
		.amdhsa_exception_fp_ieee_underflow 0
		.amdhsa_exception_fp_ieee_inexact 0
		.amdhsa_exception_int_div_zero 0
	.end_amdhsa_kernel
	.section	.text._Z17warp_store_kernelILj256ELj16ELj32ELN6hipcub18WarpStoreAlgorithmE2EiEvPT3_,"axG",@progbits,_Z17warp_store_kernelILj256ELj16ELj32ELN6hipcub18WarpStoreAlgorithmE2EiEvPT3_,comdat
.Lfunc_end10:
	.size	_Z17warp_store_kernelILj256ELj16ELj32ELN6hipcub18WarpStoreAlgorithmE2EiEvPT3_, .Lfunc_end10-_Z17warp_store_kernelILj256ELj16ELj32ELN6hipcub18WarpStoreAlgorithmE2EiEvPT3_
                                        ; -- End function
	.set _Z17warp_store_kernelILj256ELj16ELj32ELN6hipcub18WarpStoreAlgorithmE2EiEvPT3_.num_vgpr, 18
	.set _Z17warp_store_kernelILj256ELj16ELj32ELN6hipcub18WarpStoreAlgorithmE2EiEvPT3_.num_agpr, 0
	.set _Z17warp_store_kernelILj256ELj16ELj32ELN6hipcub18WarpStoreAlgorithmE2EiEvPT3_.numbered_sgpr, 7
	.set _Z17warp_store_kernelILj256ELj16ELj32ELN6hipcub18WarpStoreAlgorithmE2EiEvPT3_.num_named_barrier, 0
	.set _Z17warp_store_kernelILj256ELj16ELj32ELN6hipcub18WarpStoreAlgorithmE2EiEvPT3_.private_seg_size, 0
	.set _Z17warp_store_kernelILj256ELj16ELj32ELN6hipcub18WarpStoreAlgorithmE2EiEvPT3_.uses_vcc, 1
	.set _Z17warp_store_kernelILj256ELj16ELj32ELN6hipcub18WarpStoreAlgorithmE2EiEvPT3_.uses_flat_scratch, 0
	.set _Z17warp_store_kernelILj256ELj16ELj32ELN6hipcub18WarpStoreAlgorithmE2EiEvPT3_.has_dyn_sized_stack, 0
	.set _Z17warp_store_kernelILj256ELj16ELj32ELN6hipcub18WarpStoreAlgorithmE2EiEvPT3_.has_recursion, 0
	.set _Z17warp_store_kernelILj256ELj16ELj32ELN6hipcub18WarpStoreAlgorithmE2EiEvPT3_.has_indirect_call, 0
	.section	.AMDGPU.csdata,"",@progbits
; Kernel info:
; codeLenInByte = 188
; TotalNumSgprs: 9
; NumVgprs: 18
; ScratchSize: 0
; MemoryBound: 1
; FloatMode: 240
; IeeeMode: 1
; LDSByteSize: 0 bytes/workgroup (compile time only)
; SGPRBlocks: 0
; VGPRBlocks: 2
; NumSGPRsForWavesPerEU: 9
; NumVGPRsForWavesPerEU: 18
; Occupancy: 16
; WaveLimiterHint : 1
; COMPUTE_PGM_RSRC2:SCRATCH_EN: 0
; COMPUTE_PGM_RSRC2:USER_SGPR: 6
; COMPUTE_PGM_RSRC2:TRAP_HANDLER: 0
; COMPUTE_PGM_RSRC2:TGID_X_EN: 1
; COMPUTE_PGM_RSRC2:TGID_Y_EN: 0
; COMPUTE_PGM_RSRC2:TGID_Z_EN: 0
; COMPUTE_PGM_RSRC2:TIDIG_COMP_CNT: 0
	.section	.text._Z17warp_store_kernelILj256ELj16ELj32ELN6hipcub18WarpStoreAlgorithmE3EiEvPT3_,"axG",@progbits,_Z17warp_store_kernelILj256ELj16ELj32ELN6hipcub18WarpStoreAlgorithmE3EiEvPT3_,comdat
	.protected	_Z17warp_store_kernelILj256ELj16ELj32ELN6hipcub18WarpStoreAlgorithmE3EiEvPT3_ ; -- Begin function _Z17warp_store_kernelILj256ELj16ELj32ELN6hipcub18WarpStoreAlgorithmE3EiEvPT3_
	.globl	_Z17warp_store_kernelILj256ELj16ELj32ELN6hipcub18WarpStoreAlgorithmE3EiEvPT3_
	.p2align	8
	.type	_Z17warp_store_kernelILj256ELj16ELj32ELN6hipcub18WarpStoreAlgorithmE3EiEvPT3_,@function
_Z17warp_store_kernelILj256ELj16ELj32ELN6hipcub18WarpStoreAlgorithmE3EiEvPT3_: ; @_Z17warp_store_kernelILj256ELj16ELj32ELN6hipcub18WarpStoreAlgorithmE3EiEvPT3_
; %bb.0:
	v_mbcnt_lo_u32_b32 v18, -1, 0
	v_lshrrev_b32_e32 v6, 5, v0
	s_lshl_b32 s0, s6, 12
	v_mov_b32_e32 v5, 0
	v_mov_b32_e32 v1, 1
	v_lshlrev_b32_e32 v7, 6, v18
	v_lshl_or_b32 v4, v6, 9, s0
	v_mov_b32_e32 v2, 2
	v_mov_b32_e32 v3, 3
	;; [unrolled: 1-line block ×3, first 2 shown]
	v_lshl_or_b32 v19, v6, 11, v7
	v_lshlrev_b64 v[16:17], 2, v[4:5]
	v_mov_b32_e32 v4, 4
	v_mov_b32_e32 v5, 5
	;; [unrolled: 1-line block ×4, first 2 shown]
	s_load_dwordx2 s[0:1], s[4:5], 0x0
	v_mov_b32_e32 v8, 8
	v_mov_b32_e32 v9, 9
	;; [unrolled: 1-line block ×4, first 2 shown]
	ds_write_b128 v19, v[0:3]
	ds_write_b128 v19, v[4:7] offset:16
	v_mad_i32_i24 v6, 0xffffffc4, v18, v19
	v_mov_b32_e32 v12, 12
	v_mov_b32_e32 v13, 13
	;; [unrolled: 1-line block ×4, first 2 shown]
	ds_write_b128 v19, v[8:11] offset:32
	ds_write_b128 v19, v[12:15] offset:48
	v_add_nc_u32_e32 v14, 0x400, v6
	; wave barrier
	ds_read2_b32 v[0:1], v6 offset1:32
	ds_read2_b32 v[2:3], v6 offset0:64 offset1:96
	ds_read2_b32 v[4:5], v6 offset0:128 offset1:160
	;; [unrolled: 1-line block ×3, first 2 shown]
	ds_read2_b32 v[8:9], v14 offset1:32
	ds_read2_b32 v[10:11], v14 offset0:64 offset1:96
	ds_read2_b32 v[12:13], v14 offset0:128 offset1:160
	;; [unrolled: 1-line block ×3, first 2 shown]
	s_waitcnt lgkmcnt(0)
	v_add_co_u32 v16, vcc_lo, s0, v16
	v_lshlrev_b32_e32 v18, 2, v18
	v_add_co_ci_u32_e64 v17, null, s1, v17, vcc_lo
	v_add_co_u32 v16, vcc_lo, v16, v18
	v_add_co_ci_u32_e64 v17, null, 0, v17, vcc_lo
	global_store_dword v[16:17], v0, off
	global_store_dword v[16:17], v1, off offset:128
	global_store_dword v[16:17], v2, off offset:256
	;; [unrolled: 1-line block ×15, first 2 shown]
	s_endpgm
	.section	.rodata,"a",@progbits
	.p2align	6, 0x0
	.amdhsa_kernel _Z17warp_store_kernelILj256ELj16ELj32ELN6hipcub18WarpStoreAlgorithmE3EiEvPT3_
		.amdhsa_group_segment_fixed_size 16384
		.amdhsa_private_segment_fixed_size 0
		.amdhsa_kernarg_size 8
		.amdhsa_user_sgpr_count 6
		.amdhsa_user_sgpr_private_segment_buffer 1
		.amdhsa_user_sgpr_dispatch_ptr 0
		.amdhsa_user_sgpr_queue_ptr 0
		.amdhsa_user_sgpr_kernarg_segment_ptr 1
		.amdhsa_user_sgpr_dispatch_id 0
		.amdhsa_user_sgpr_flat_scratch_init 0
		.amdhsa_user_sgpr_private_segment_size 0
		.amdhsa_wavefront_size32 1
		.amdhsa_uses_dynamic_stack 0
		.amdhsa_system_sgpr_private_segment_wavefront_offset 0
		.amdhsa_system_sgpr_workgroup_id_x 1
		.amdhsa_system_sgpr_workgroup_id_y 0
		.amdhsa_system_sgpr_workgroup_id_z 0
		.amdhsa_system_sgpr_workgroup_info 0
		.amdhsa_system_vgpr_workitem_id 0
		.amdhsa_next_free_vgpr 20
		.amdhsa_next_free_sgpr 7
		.amdhsa_reserve_vcc 1
		.amdhsa_reserve_flat_scratch 0
		.amdhsa_float_round_mode_32 0
		.amdhsa_float_round_mode_16_64 0
		.amdhsa_float_denorm_mode_32 3
		.amdhsa_float_denorm_mode_16_64 3
		.amdhsa_dx10_clamp 1
		.amdhsa_ieee_mode 1
		.amdhsa_fp16_overflow 0
		.amdhsa_workgroup_processor_mode 1
		.amdhsa_memory_ordered 1
		.amdhsa_forward_progress 1
		.amdhsa_shared_vgpr_count 0
		.amdhsa_exception_fp_ieee_invalid_op 0
		.amdhsa_exception_fp_denorm_src 0
		.amdhsa_exception_fp_ieee_div_zero 0
		.amdhsa_exception_fp_ieee_overflow 0
		.amdhsa_exception_fp_ieee_underflow 0
		.amdhsa_exception_fp_ieee_inexact 0
		.amdhsa_exception_int_div_zero 0
	.end_amdhsa_kernel
	.section	.text._Z17warp_store_kernelILj256ELj16ELj32ELN6hipcub18WarpStoreAlgorithmE3EiEvPT3_,"axG",@progbits,_Z17warp_store_kernelILj256ELj16ELj32ELN6hipcub18WarpStoreAlgorithmE3EiEvPT3_,comdat
.Lfunc_end11:
	.size	_Z17warp_store_kernelILj256ELj16ELj32ELN6hipcub18WarpStoreAlgorithmE3EiEvPT3_, .Lfunc_end11-_Z17warp_store_kernelILj256ELj16ELj32ELN6hipcub18WarpStoreAlgorithmE3EiEvPT3_
                                        ; -- End function
	.set _Z17warp_store_kernelILj256ELj16ELj32ELN6hipcub18WarpStoreAlgorithmE3EiEvPT3_.num_vgpr, 20
	.set _Z17warp_store_kernelILj256ELj16ELj32ELN6hipcub18WarpStoreAlgorithmE3EiEvPT3_.num_agpr, 0
	.set _Z17warp_store_kernelILj256ELj16ELj32ELN6hipcub18WarpStoreAlgorithmE3EiEvPT3_.numbered_sgpr, 7
	.set _Z17warp_store_kernelILj256ELj16ELj32ELN6hipcub18WarpStoreAlgorithmE3EiEvPT3_.num_named_barrier, 0
	.set _Z17warp_store_kernelILj256ELj16ELj32ELN6hipcub18WarpStoreAlgorithmE3EiEvPT3_.private_seg_size, 0
	.set _Z17warp_store_kernelILj256ELj16ELj32ELN6hipcub18WarpStoreAlgorithmE3EiEvPT3_.uses_vcc, 1
	.set _Z17warp_store_kernelILj256ELj16ELj32ELN6hipcub18WarpStoreAlgorithmE3EiEvPT3_.uses_flat_scratch, 0
	.set _Z17warp_store_kernelILj256ELj16ELj32ELN6hipcub18WarpStoreAlgorithmE3EiEvPT3_.has_dyn_sized_stack, 0
	.set _Z17warp_store_kernelILj256ELj16ELj32ELN6hipcub18WarpStoreAlgorithmE3EiEvPT3_.has_recursion, 0
	.set _Z17warp_store_kernelILj256ELj16ELj32ELN6hipcub18WarpStoreAlgorithmE3EiEvPT3_.has_indirect_call, 0
	.section	.AMDGPU.csdata,"",@progbits
; Kernel info:
; codeLenInByte = 408
; TotalNumSgprs: 9
; NumVgprs: 20
; ScratchSize: 0
; MemoryBound: 1
; FloatMode: 240
; IeeeMode: 1
; LDSByteSize: 16384 bytes/workgroup (compile time only)
; SGPRBlocks: 0
; VGPRBlocks: 2
; NumSGPRsForWavesPerEU: 9
; NumVGPRsForWavesPerEU: 20
; Occupancy: 16
; WaveLimiterHint : 1
; COMPUTE_PGM_RSRC2:SCRATCH_EN: 0
; COMPUTE_PGM_RSRC2:USER_SGPR: 6
; COMPUTE_PGM_RSRC2:TRAP_HANDLER: 0
; COMPUTE_PGM_RSRC2:TGID_X_EN: 1
; COMPUTE_PGM_RSRC2:TGID_Y_EN: 0
; COMPUTE_PGM_RSRC2:TGID_Z_EN: 0
; COMPUTE_PGM_RSRC2:TIDIG_COMP_CNT: 0
	.section	.text._Z17warp_store_kernelILj256ELj32ELj32ELN6hipcub18WarpStoreAlgorithmE0EiEvPT3_,"axG",@progbits,_Z17warp_store_kernelILj256ELj32ELj32ELN6hipcub18WarpStoreAlgorithmE0EiEvPT3_,comdat
	.protected	_Z17warp_store_kernelILj256ELj32ELj32ELN6hipcub18WarpStoreAlgorithmE0EiEvPT3_ ; -- Begin function _Z17warp_store_kernelILj256ELj32ELj32ELN6hipcub18WarpStoreAlgorithmE0EiEvPT3_
	.globl	_Z17warp_store_kernelILj256ELj32ELj32ELN6hipcub18WarpStoreAlgorithmE0EiEvPT3_
	.p2align	8
	.type	_Z17warp_store_kernelILj256ELj32ELj32ELN6hipcub18WarpStoreAlgorithmE0EiEvPT3_,@function
_Z17warp_store_kernelILj256ELj32ELj32ELN6hipcub18WarpStoreAlgorithmE0EiEvPT3_: ; @_Z17warp_store_kernelILj256ELj32ELj32ELN6hipcub18WarpStoreAlgorithmE0EiEvPT3_
; %bb.0:
	s_load_dwordx2 s[0:1], s[4:5], 0x0
	v_lshlrev_b32_e32 v0, 5, v0
	s_lshl_b32 s2, s6, 13
	v_mov_b32_e32 v9, 0
	v_mbcnt_lo_u32_b32 v12, -1, 0
	v_mov_b32_e32 v1, 1
	v_and_or_b32 v8, 0x1c00, v0, s2
	v_mov_b32_e32 v2, 2
	v_mov_b32_e32 v3, 3
	v_lshlrev_b32_e32 v12, 7, v12
	v_mov_b32_e32 v0, v9
	v_lshlrev_b64 v[10:11], 2, v[8:9]
	v_mov_b32_e32 v4, 4
	v_mov_b32_e32 v5, 5
	;; [unrolled: 1-line block ×8, first 2 shown]
	s_waitcnt lgkmcnt(0)
	v_add_co_u32 v10, vcc_lo, s0, v10
	v_add_co_ci_u32_e64 v11, null, s1, v11, vcc_lo
	v_mov_b32_e32 v15, 27
	v_add_co_u32 v20, vcc_lo, v10, v12
	v_add_co_ci_u32_e64 v21, null, 0, v11, vcc_lo
	v_mov_b32_e32 v10, 10
	v_mov_b32_e32 v11, 11
	;; [unrolled: 1-line block ×3, first 2 shown]
	global_store_dwordx4 v[20:21], v[0:3], off
	global_store_dwordx4 v[20:21], v[4:7], off offset:16
	global_store_dwordx4 v[20:21], v[8:11], off offset:32
	v_mov_b32_e32 v0, 12
	v_mov_b32_e32 v1, 13
	;; [unrolled: 1-line block ×16, first 2 shown]
	global_store_dwordx4 v[20:21], v[0:3], off offset:48
	global_store_dwordx4 v[20:21], v[4:7], off offset:64
	;; [unrolled: 1-line block ×5, first 2 shown]
	s_endpgm
	.section	.rodata,"a",@progbits
	.p2align	6, 0x0
	.amdhsa_kernel _Z17warp_store_kernelILj256ELj32ELj32ELN6hipcub18WarpStoreAlgorithmE0EiEvPT3_
		.amdhsa_group_segment_fixed_size 0
		.amdhsa_private_segment_fixed_size 0
		.amdhsa_kernarg_size 8
		.amdhsa_user_sgpr_count 6
		.amdhsa_user_sgpr_private_segment_buffer 1
		.amdhsa_user_sgpr_dispatch_ptr 0
		.amdhsa_user_sgpr_queue_ptr 0
		.amdhsa_user_sgpr_kernarg_segment_ptr 1
		.amdhsa_user_sgpr_dispatch_id 0
		.amdhsa_user_sgpr_flat_scratch_init 0
		.amdhsa_user_sgpr_private_segment_size 0
		.amdhsa_wavefront_size32 1
		.amdhsa_uses_dynamic_stack 0
		.amdhsa_system_sgpr_private_segment_wavefront_offset 0
		.amdhsa_system_sgpr_workgroup_id_x 1
		.amdhsa_system_sgpr_workgroup_id_y 0
		.amdhsa_system_sgpr_workgroup_id_z 0
		.amdhsa_system_sgpr_workgroup_info 0
		.amdhsa_system_vgpr_workitem_id 0
		.amdhsa_next_free_vgpr 22
		.amdhsa_next_free_sgpr 7
		.amdhsa_reserve_vcc 1
		.amdhsa_reserve_flat_scratch 0
		.amdhsa_float_round_mode_32 0
		.amdhsa_float_round_mode_16_64 0
		.amdhsa_float_denorm_mode_32 3
		.amdhsa_float_denorm_mode_16_64 3
		.amdhsa_dx10_clamp 1
		.amdhsa_ieee_mode 1
		.amdhsa_fp16_overflow 0
		.amdhsa_workgroup_processor_mode 1
		.amdhsa_memory_ordered 1
		.amdhsa_forward_progress 1
		.amdhsa_shared_vgpr_count 0
		.amdhsa_exception_fp_ieee_invalid_op 0
		.amdhsa_exception_fp_denorm_src 0
		.amdhsa_exception_fp_ieee_div_zero 0
		.amdhsa_exception_fp_ieee_overflow 0
		.amdhsa_exception_fp_ieee_underflow 0
		.amdhsa_exception_fp_ieee_inexact 0
		.amdhsa_exception_int_div_zero 0
	.end_amdhsa_kernel
	.section	.text._Z17warp_store_kernelILj256ELj32ELj32ELN6hipcub18WarpStoreAlgorithmE0EiEvPT3_,"axG",@progbits,_Z17warp_store_kernelILj256ELj32ELj32ELN6hipcub18WarpStoreAlgorithmE0EiEvPT3_,comdat
.Lfunc_end12:
	.size	_Z17warp_store_kernelILj256ELj32ELj32ELN6hipcub18WarpStoreAlgorithmE0EiEvPT3_, .Lfunc_end12-_Z17warp_store_kernelILj256ELj32ELj32ELN6hipcub18WarpStoreAlgorithmE0EiEvPT3_
                                        ; -- End function
	.set _Z17warp_store_kernelILj256ELj32ELj32ELN6hipcub18WarpStoreAlgorithmE0EiEvPT3_.num_vgpr, 22
	.set _Z17warp_store_kernelILj256ELj32ELj32ELN6hipcub18WarpStoreAlgorithmE0EiEvPT3_.num_agpr, 0
	.set _Z17warp_store_kernelILj256ELj32ELj32ELN6hipcub18WarpStoreAlgorithmE0EiEvPT3_.numbered_sgpr, 7
	.set _Z17warp_store_kernelILj256ELj32ELj32ELN6hipcub18WarpStoreAlgorithmE0EiEvPT3_.num_named_barrier, 0
	.set _Z17warp_store_kernelILj256ELj32ELj32ELN6hipcub18WarpStoreAlgorithmE0EiEvPT3_.private_seg_size, 0
	.set _Z17warp_store_kernelILj256ELj32ELj32ELN6hipcub18WarpStoreAlgorithmE0EiEvPT3_.uses_vcc, 1
	.set _Z17warp_store_kernelILj256ELj32ELj32ELN6hipcub18WarpStoreAlgorithmE0EiEvPT3_.uses_flat_scratch, 0
	.set _Z17warp_store_kernelILj256ELj32ELj32ELN6hipcub18WarpStoreAlgorithmE0EiEvPT3_.has_dyn_sized_stack, 0
	.set _Z17warp_store_kernelILj256ELj32ELj32ELN6hipcub18WarpStoreAlgorithmE0EiEvPT3_.has_recursion, 0
	.set _Z17warp_store_kernelILj256ELj32ELj32ELN6hipcub18WarpStoreAlgorithmE0EiEvPT3_.has_indirect_call, 0
	.section	.AMDGPU.csdata,"",@progbits
; Kernel info:
; codeLenInByte = 284
; TotalNumSgprs: 9
; NumVgprs: 22
; ScratchSize: 0
; MemoryBound: 1
; FloatMode: 240
; IeeeMode: 1
; LDSByteSize: 0 bytes/workgroup (compile time only)
; SGPRBlocks: 0
; VGPRBlocks: 2
; NumSGPRsForWavesPerEU: 9
; NumVGPRsForWavesPerEU: 22
; Occupancy: 16
; WaveLimiterHint : 1
; COMPUTE_PGM_RSRC2:SCRATCH_EN: 0
; COMPUTE_PGM_RSRC2:USER_SGPR: 6
; COMPUTE_PGM_RSRC2:TRAP_HANDLER: 0
; COMPUTE_PGM_RSRC2:TGID_X_EN: 1
; COMPUTE_PGM_RSRC2:TGID_Y_EN: 0
; COMPUTE_PGM_RSRC2:TGID_Z_EN: 0
; COMPUTE_PGM_RSRC2:TIDIG_COMP_CNT: 0
	.section	.text._Z17warp_store_kernelILj256ELj32ELj32ELN6hipcub18WarpStoreAlgorithmE1EiEvPT3_,"axG",@progbits,_Z17warp_store_kernelILj256ELj32ELj32ELN6hipcub18WarpStoreAlgorithmE1EiEvPT3_,comdat
	.protected	_Z17warp_store_kernelILj256ELj32ELj32ELN6hipcub18WarpStoreAlgorithmE1EiEvPT3_ ; -- Begin function _Z17warp_store_kernelILj256ELj32ELj32ELN6hipcub18WarpStoreAlgorithmE1EiEvPT3_
	.globl	_Z17warp_store_kernelILj256ELj32ELj32ELN6hipcub18WarpStoreAlgorithmE1EiEvPT3_
	.p2align	8
	.type	_Z17warp_store_kernelILj256ELj32ELj32ELN6hipcub18WarpStoreAlgorithmE1EiEvPT3_,@function
_Z17warp_store_kernelILj256ELj32ELj32ELN6hipcub18WarpStoreAlgorithmE1EiEvPT3_: ; @_Z17warp_store_kernelILj256ELj32ELj32ELN6hipcub18WarpStoreAlgorithmE1EiEvPT3_
; %bb.0:
	s_load_dwordx2 s[0:1], s[4:5], 0x0
	v_lshlrev_b32_e32 v0, 5, v0
	s_lshl_b32 s2, s6, 13
	v_mov_b32_e32 v1, 0
	v_mbcnt_lo_u32_b32 v4, -1, 0
	v_mov_b32_e32 v6, 1
	v_and_or_b32 v0, 0x1c00, v0, s2
	v_mov_b32_e32 v5, 2
	v_mov_b32_e32 v7, 4
	v_lshlrev_b32_e32 v4, 2, v4
	v_mov_b32_e32 v9, 7
	v_lshlrev_b64 v[2:3], 2, v[0:1]
	v_mov_b32_e32 v0, 5
	v_mov_b32_e32 v8, 6
	s_waitcnt lgkmcnt(0)
	v_add_co_u32 v2, vcc_lo, s0, v2
	v_add_co_ci_u32_e64 v3, null, s1, v3, vcc_lo
	v_add_co_u32 v2, vcc_lo, v2, v4
	v_add_co_ci_u32_e64 v3, null, 0, v3, vcc_lo
	v_mov_b32_e32 v4, 3
	global_store_dword v[2:3], v1, off
	global_store_dword v[2:3], v6, off offset:128
	global_store_dword v[2:3], v5, off offset:256
	;; [unrolled: 1-line block ×6, first 2 shown]
	v_mov_b32_e32 v0, 8
	v_mov_b32_e32 v1, 9
	;; [unrolled: 1-line block ×4, first 2 shown]
	global_store_dword v[2:3], v9, off offset:896
	global_store_dword v[2:3], v0, off offset:1024
	;; [unrolled: 1-line block ×5, first 2 shown]
	v_mov_b32_e32 v4, 12
	v_mov_b32_e32 v5, 13
	;; [unrolled: 1-line block ×3, first 2 shown]
	v_add_co_u32 v0, vcc_lo, 0x800, v2
	v_mov_b32_e32 v7, 15
	v_add_co_ci_u32_e64 v1, null, 0, v3, vcc_lo
	v_mov_b32_e32 v8, 16
	global_store_dword v[2:3], v4, off offset:1536
	global_store_dword v[2:3], v5, off offset:1664
	;; [unrolled: 1-line block ×4, first 2 shown]
	global_store_dword v[0:1], v8, off
	v_mov_b32_e32 v2, 17
	v_mov_b32_e32 v3, 18
	v_mov_b32_e32 v4, 19
	v_mov_b32_e32 v5, 20
	v_mov_b32_e32 v6, 21
	global_store_dword v[0:1], v2, off offset:128
	global_store_dword v[0:1], v3, off offset:256
	global_store_dword v[0:1], v4, off offset:384
	global_store_dword v[0:1], v5, off offset:512
	global_store_dword v[0:1], v6, off offset:640
	v_mov_b32_e32 v2, 22
	v_mov_b32_e32 v3, 23
	v_mov_b32_e32 v4, 24
	v_mov_b32_e32 v5, 25
	v_mov_b32_e32 v6, 26
	global_store_dword v[0:1], v2, off offset:768
	global_store_dword v[0:1], v3, off offset:896
	global_store_dword v[0:1], v4, off offset:1024
	global_store_dword v[0:1], v5, off offset:1152
	global_store_dword v[0:1], v6, off offset:1280
	;; [unrolled: 10-line block ×3, first 2 shown]
	s_endpgm
	.section	.rodata,"a",@progbits
	.p2align	6, 0x0
	.amdhsa_kernel _Z17warp_store_kernelILj256ELj32ELj32ELN6hipcub18WarpStoreAlgorithmE1EiEvPT3_
		.amdhsa_group_segment_fixed_size 0
		.amdhsa_private_segment_fixed_size 0
		.amdhsa_kernarg_size 8
		.amdhsa_user_sgpr_count 6
		.amdhsa_user_sgpr_private_segment_buffer 1
		.amdhsa_user_sgpr_dispatch_ptr 0
		.amdhsa_user_sgpr_queue_ptr 0
		.amdhsa_user_sgpr_kernarg_segment_ptr 1
		.amdhsa_user_sgpr_dispatch_id 0
		.amdhsa_user_sgpr_flat_scratch_init 0
		.amdhsa_user_sgpr_private_segment_size 0
		.amdhsa_wavefront_size32 1
		.amdhsa_uses_dynamic_stack 0
		.amdhsa_system_sgpr_private_segment_wavefront_offset 0
		.amdhsa_system_sgpr_workgroup_id_x 1
		.amdhsa_system_sgpr_workgroup_id_y 0
		.amdhsa_system_sgpr_workgroup_id_z 0
		.amdhsa_system_sgpr_workgroup_info 0
		.amdhsa_system_vgpr_workitem_id 0
		.amdhsa_next_free_vgpr 10
		.amdhsa_next_free_sgpr 7
		.amdhsa_reserve_vcc 1
		.amdhsa_reserve_flat_scratch 0
		.amdhsa_float_round_mode_32 0
		.amdhsa_float_round_mode_16_64 0
		.amdhsa_float_denorm_mode_32 3
		.amdhsa_float_denorm_mode_16_64 3
		.amdhsa_dx10_clamp 1
		.amdhsa_ieee_mode 1
		.amdhsa_fp16_overflow 0
		.amdhsa_workgroup_processor_mode 1
		.amdhsa_memory_ordered 1
		.amdhsa_forward_progress 1
		.amdhsa_shared_vgpr_count 0
		.amdhsa_exception_fp_ieee_invalid_op 0
		.amdhsa_exception_fp_denorm_src 0
		.amdhsa_exception_fp_ieee_div_zero 0
		.amdhsa_exception_fp_ieee_overflow 0
		.amdhsa_exception_fp_ieee_underflow 0
		.amdhsa_exception_fp_ieee_inexact 0
		.amdhsa_exception_int_div_zero 0
	.end_amdhsa_kernel
	.section	.text._Z17warp_store_kernelILj256ELj32ELj32ELN6hipcub18WarpStoreAlgorithmE1EiEvPT3_,"axG",@progbits,_Z17warp_store_kernelILj256ELj32ELj32ELN6hipcub18WarpStoreAlgorithmE1EiEvPT3_,comdat
.Lfunc_end13:
	.size	_Z17warp_store_kernelILj256ELj32ELj32ELN6hipcub18WarpStoreAlgorithmE1EiEvPT3_, .Lfunc_end13-_Z17warp_store_kernelILj256ELj32ELj32ELN6hipcub18WarpStoreAlgorithmE1EiEvPT3_
                                        ; -- End function
	.set _Z17warp_store_kernelILj256ELj32ELj32ELN6hipcub18WarpStoreAlgorithmE1EiEvPT3_.num_vgpr, 10
	.set _Z17warp_store_kernelILj256ELj32ELj32ELN6hipcub18WarpStoreAlgorithmE1EiEvPT3_.num_agpr, 0
	.set _Z17warp_store_kernelILj256ELj32ELj32ELN6hipcub18WarpStoreAlgorithmE1EiEvPT3_.numbered_sgpr, 7
	.set _Z17warp_store_kernelILj256ELj32ELj32ELN6hipcub18WarpStoreAlgorithmE1EiEvPT3_.num_named_barrier, 0
	.set _Z17warp_store_kernelILj256ELj32ELj32ELN6hipcub18WarpStoreAlgorithmE1EiEvPT3_.private_seg_size, 0
	.set _Z17warp_store_kernelILj256ELj32ELj32ELN6hipcub18WarpStoreAlgorithmE1EiEvPT3_.uses_vcc, 1
	.set _Z17warp_store_kernelILj256ELj32ELj32ELN6hipcub18WarpStoreAlgorithmE1EiEvPT3_.uses_flat_scratch, 0
	.set _Z17warp_store_kernelILj256ELj32ELj32ELN6hipcub18WarpStoreAlgorithmE1EiEvPT3_.has_dyn_sized_stack, 0
	.set _Z17warp_store_kernelILj256ELj32ELj32ELN6hipcub18WarpStoreAlgorithmE1EiEvPT3_.has_recursion, 0
	.set _Z17warp_store_kernelILj256ELj32ELj32ELN6hipcub18WarpStoreAlgorithmE1EiEvPT3_.has_indirect_call, 0
	.section	.AMDGPU.csdata,"",@progbits
; Kernel info:
; codeLenInByte = 492
; TotalNumSgprs: 9
; NumVgprs: 10
; ScratchSize: 0
; MemoryBound: 1
; FloatMode: 240
; IeeeMode: 1
; LDSByteSize: 0 bytes/workgroup (compile time only)
; SGPRBlocks: 0
; VGPRBlocks: 1
; NumSGPRsForWavesPerEU: 9
; NumVGPRsForWavesPerEU: 10
; Occupancy: 16
; WaveLimiterHint : 1
; COMPUTE_PGM_RSRC2:SCRATCH_EN: 0
; COMPUTE_PGM_RSRC2:USER_SGPR: 6
; COMPUTE_PGM_RSRC2:TRAP_HANDLER: 0
; COMPUTE_PGM_RSRC2:TGID_X_EN: 1
; COMPUTE_PGM_RSRC2:TGID_Y_EN: 0
; COMPUTE_PGM_RSRC2:TGID_Z_EN: 0
; COMPUTE_PGM_RSRC2:TIDIG_COMP_CNT: 0
	.section	.text._Z17warp_store_kernelILj256ELj32ELj32ELN6hipcub18WarpStoreAlgorithmE2EiEvPT3_,"axG",@progbits,_Z17warp_store_kernelILj256ELj32ELj32ELN6hipcub18WarpStoreAlgorithmE2EiEvPT3_,comdat
	.protected	_Z17warp_store_kernelILj256ELj32ELj32ELN6hipcub18WarpStoreAlgorithmE2EiEvPT3_ ; -- Begin function _Z17warp_store_kernelILj256ELj32ELj32ELN6hipcub18WarpStoreAlgorithmE2EiEvPT3_
	.globl	_Z17warp_store_kernelILj256ELj32ELj32ELN6hipcub18WarpStoreAlgorithmE2EiEvPT3_
	.p2align	8
	.type	_Z17warp_store_kernelILj256ELj32ELj32ELN6hipcub18WarpStoreAlgorithmE2EiEvPT3_,@function
_Z17warp_store_kernelILj256ELj32ELj32ELN6hipcub18WarpStoreAlgorithmE2EiEvPT3_: ; @_Z17warp_store_kernelILj256ELj32ELj32ELN6hipcub18WarpStoreAlgorithmE2EiEvPT3_
; %bb.0:
	s_load_dwordx2 s[0:1], s[4:5], 0x0
	v_lshlrev_b32_e32 v0, 5, v0
	s_lshl_b32 s2, s6, 13
	v_mov_b32_e32 v9, 0
	v_mbcnt_lo_u32_b32 v12, -1, 0
	v_mov_b32_e32 v1, 1
	v_and_or_b32 v8, 0x1c00, v0, s2
	v_mov_b32_e32 v2, 2
	v_mov_b32_e32 v3, 3
	v_lshlrev_b32_e32 v12, 7, v12
	v_mov_b32_e32 v0, v9
	v_lshlrev_b64 v[10:11], 2, v[8:9]
	v_mov_b32_e32 v4, 4
	v_mov_b32_e32 v5, 5
	;; [unrolled: 1-line block ×8, first 2 shown]
	s_waitcnt lgkmcnt(0)
	v_add_co_u32 v10, vcc_lo, s0, v10
	v_add_co_ci_u32_e64 v11, null, s1, v11, vcc_lo
	v_mov_b32_e32 v15, 27
	v_add_co_u32 v20, vcc_lo, v10, v12
	v_add_co_ci_u32_e64 v21, null, 0, v11, vcc_lo
	v_mov_b32_e32 v10, 10
	v_mov_b32_e32 v11, 11
	;; [unrolled: 1-line block ×3, first 2 shown]
	global_store_dwordx4 v[20:21], v[0:3], off
	global_store_dwordx4 v[20:21], v[4:7], off offset:16
	global_store_dwordx4 v[20:21], v[8:11], off offset:32
	v_mov_b32_e32 v0, 12
	v_mov_b32_e32 v1, 13
	;; [unrolled: 1-line block ×16, first 2 shown]
	global_store_dwordx4 v[20:21], v[0:3], off offset:48
	global_store_dwordx4 v[20:21], v[4:7], off offset:64
	;; [unrolled: 1-line block ×5, first 2 shown]
	s_endpgm
	.section	.rodata,"a",@progbits
	.p2align	6, 0x0
	.amdhsa_kernel _Z17warp_store_kernelILj256ELj32ELj32ELN6hipcub18WarpStoreAlgorithmE2EiEvPT3_
		.amdhsa_group_segment_fixed_size 0
		.amdhsa_private_segment_fixed_size 0
		.amdhsa_kernarg_size 8
		.amdhsa_user_sgpr_count 6
		.amdhsa_user_sgpr_private_segment_buffer 1
		.amdhsa_user_sgpr_dispatch_ptr 0
		.amdhsa_user_sgpr_queue_ptr 0
		.amdhsa_user_sgpr_kernarg_segment_ptr 1
		.amdhsa_user_sgpr_dispatch_id 0
		.amdhsa_user_sgpr_flat_scratch_init 0
		.amdhsa_user_sgpr_private_segment_size 0
		.amdhsa_wavefront_size32 1
		.amdhsa_uses_dynamic_stack 0
		.amdhsa_system_sgpr_private_segment_wavefront_offset 0
		.amdhsa_system_sgpr_workgroup_id_x 1
		.amdhsa_system_sgpr_workgroup_id_y 0
		.amdhsa_system_sgpr_workgroup_id_z 0
		.amdhsa_system_sgpr_workgroup_info 0
		.amdhsa_system_vgpr_workitem_id 0
		.amdhsa_next_free_vgpr 22
		.amdhsa_next_free_sgpr 7
		.amdhsa_reserve_vcc 1
		.amdhsa_reserve_flat_scratch 0
		.amdhsa_float_round_mode_32 0
		.amdhsa_float_round_mode_16_64 0
		.amdhsa_float_denorm_mode_32 3
		.amdhsa_float_denorm_mode_16_64 3
		.amdhsa_dx10_clamp 1
		.amdhsa_ieee_mode 1
		.amdhsa_fp16_overflow 0
		.amdhsa_workgroup_processor_mode 1
		.amdhsa_memory_ordered 1
		.amdhsa_forward_progress 1
		.amdhsa_shared_vgpr_count 0
		.amdhsa_exception_fp_ieee_invalid_op 0
		.amdhsa_exception_fp_denorm_src 0
		.amdhsa_exception_fp_ieee_div_zero 0
		.amdhsa_exception_fp_ieee_overflow 0
		.amdhsa_exception_fp_ieee_underflow 0
		.amdhsa_exception_fp_ieee_inexact 0
		.amdhsa_exception_int_div_zero 0
	.end_amdhsa_kernel
	.section	.text._Z17warp_store_kernelILj256ELj32ELj32ELN6hipcub18WarpStoreAlgorithmE2EiEvPT3_,"axG",@progbits,_Z17warp_store_kernelILj256ELj32ELj32ELN6hipcub18WarpStoreAlgorithmE2EiEvPT3_,comdat
.Lfunc_end14:
	.size	_Z17warp_store_kernelILj256ELj32ELj32ELN6hipcub18WarpStoreAlgorithmE2EiEvPT3_, .Lfunc_end14-_Z17warp_store_kernelILj256ELj32ELj32ELN6hipcub18WarpStoreAlgorithmE2EiEvPT3_
                                        ; -- End function
	.set _Z17warp_store_kernelILj256ELj32ELj32ELN6hipcub18WarpStoreAlgorithmE2EiEvPT3_.num_vgpr, 22
	.set _Z17warp_store_kernelILj256ELj32ELj32ELN6hipcub18WarpStoreAlgorithmE2EiEvPT3_.num_agpr, 0
	.set _Z17warp_store_kernelILj256ELj32ELj32ELN6hipcub18WarpStoreAlgorithmE2EiEvPT3_.numbered_sgpr, 7
	.set _Z17warp_store_kernelILj256ELj32ELj32ELN6hipcub18WarpStoreAlgorithmE2EiEvPT3_.num_named_barrier, 0
	.set _Z17warp_store_kernelILj256ELj32ELj32ELN6hipcub18WarpStoreAlgorithmE2EiEvPT3_.private_seg_size, 0
	.set _Z17warp_store_kernelILj256ELj32ELj32ELN6hipcub18WarpStoreAlgorithmE2EiEvPT3_.uses_vcc, 1
	.set _Z17warp_store_kernelILj256ELj32ELj32ELN6hipcub18WarpStoreAlgorithmE2EiEvPT3_.uses_flat_scratch, 0
	.set _Z17warp_store_kernelILj256ELj32ELj32ELN6hipcub18WarpStoreAlgorithmE2EiEvPT3_.has_dyn_sized_stack, 0
	.set _Z17warp_store_kernelILj256ELj32ELj32ELN6hipcub18WarpStoreAlgorithmE2EiEvPT3_.has_recursion, 0
	.set _Z17warp_store_kernelILj256ELj32ELj32ELN6hipcub18WarpStoreAlgorithmE2EiEvPT3_.has_indirect_call, 0
	.section	.AMDGPU.csdata,"",@progbits
; Kernel info:
; codeLenInByte = 284
; TotalNumSgprs: 9
; NumVgprs: 22
; ScratchSize: 0
; MemoryBound: 1
; FloatMode: 240
; IeeeMode: 1
; LDSByteSize: 0 bytes/workgroup (compile time only)
; SGPRBlocks: 0
; VGPRBlocks: 2
; NumSGPRsForWavesPerEU: 9
; NumVGPRsForWavesPerEU: 22
; Occupancy: 16
; WaveLimiterHint : 1
; COMPUTE_PGM_RSRC2:SCRATCH_EN: 0
; COMPUTE_PGM_RSRC2:USER_SGPR: 6
; COMPUTE_PGM_RSRC2:TRAP_HANDLER: 0
; COMPUTE_PGM_RSRC2:TGID_X_EN: 1
; COMPUTE_PGM_RSRC2:TGID_Y_EN: 0
; COMPUTE_PGM_RSRC2:TGID_Z_EN: 0
; COMPUTE_PGM_RSRC2:TIDIG_COMP_CNT: 0
	.section	.text._Z17warp_store_kernelILj256ELj32ELj32ELN6hipcub18WarpStoreAlgorithmE3EiEvPT3_,"axG",@progbits,_Z17warp_store_kernelILj256ELj32ELj32ELN6hipcub18WarpStoreAlgorithmE3EiEvPT3_,comdat
	.protected	_Z17warp_store_kernelILj256ELj32ELj32ELN6hipcub18WarpStoreAlgorithmE3EiEvPT3_ ; -- Begin function _Z17warp_store_kernelILj256ELj32ELj32ELN6hipcub18WarpStoreAlgorithmE3EiEvPT3_
	.globl	_Z17warp_store_kernelILj256ELj32ELj32ELN6hipcub18WarpStoreAlgorithmE3EiEvPT3_
	.p2align	8
	.type	_Z17warp_store_kernelILj256ELj32ELj32ELN6hipcub18WarpStoreAlgorithmE3EiEvPT3_,@function
_Z17warp_store_kernelILj256ELj32ELj32ELN6hipcub18WarpStoreAlgorithmE3EiEvPT3_: ; @_Z17warp_store_kernelILj256ELj32ELj32ELN6hipcub18WarpStoreAlgorithmE3EiEvPT3_
; %bb.0:
	v_mbcnt_lo_u32_b32 v20, -1, 0
	s_load_dwordx2 s[0:1], s[4:5], 0x0
	v_lshrrev_b32_e32 v6, 5, v0
	s_lshl_b32 s2, s6, 13
	v_mov_b32_e32 v5, 0
	v_lshlrev_b32_e32 v7, 7, v20
	v_mov_b32_e32 v1, 1
	v_lshl_or_b32 v4, v6, 10, s2
	v_mov_b32_e32 v2, 2
	v_mov_b32_e32 v3, 3
	;; [unrolled: 1-line block ×3, first 2 shown]
	v_lshl_or_b32 v18, v6, 12, v7
	v_lshlrev_b64 v[16:17], 2, v[4:5]
	v_mov_b32_e32 v4, 4
	v_mov_b32_e32 v5, 5
	v_mov_b32_e32 v6, 6
	v_mov_b32_e32 v7, 7
	v_mov_b32_e32 v8, 8
	v_mov_b32_e32 v9, 9
	v_mov_b32_e32 v10, 10
	v_mov_b32_e32 v11, 11
	v_mov_b32_e32 v12, 12
	v_mov_b32_e32 v13, 13
	v_mov_b32_e32 v14, 14
	v_mov_b32_e32 v15, 15
	ds_write_b128 v18, v[0:3]
	ds_write_b128 v18, v[4:7] offset:16
	ds_write_b128 v18, v[8:11] offset:32
	;; [unrolled: 1-line block ×3, first 2 shown]
	v_mov_b32_e32 v0, 16
	v_mov_b32_e32 v1, 17
	;; [unrolled: 1-line block ×8, first 2 shown]
	v_mad_i32_i24 v26, 0xffffff84, v20, v18
	v_mov_b32_e32 v4, 20
	v_mov_b32_e32 v5, 21
	;; [unrolled: 1-line block ×8, first 2 shown]
	s_waitcnt lgkmcnt(0)
	v_add_co_u32 v24, vcc_lo, s0, v16
	ds_write_b128 v18, v[0:3] offset:64
	ds_write_b128 v18, v[4:7] offset:80
	;; [unrolled: 1-line block ×4, first 2 shown]
	v_add_nc_u32_e32 v14, 0x400, v26
	v_add_nc_u32_e32 v22, 0x800, v26
	v_lshlrev_b32_e32 v27, 2, v20
	v_add_nc_u32_e32 v32, 0xc00, v26
	; wave barrier
	ds_read2_b32 v[0:1], v26 offset1:32
	ds_read2_b32 v[2:3], v26 offset0:64 offset1:96
	ds_read2_b32 v[4:5], v26 offset0:128 offset1:160
	;; [unrolled: 1-line block ×3, first 2 shown]
	v_add_co_ci_u32_e64 v25, null, s1, v17, vcc_lo
	ds_read2_b32 v[8:9], v14 offset1:32
	ds_read2_b32 v[10:11], v14 offset0:64 offset1:96
	ds_read2_b32 v[12:13], v14 offset0:128 offset1:160
	;; [unrolled: 1-line block ×3, first 2 shown]
	ds_read2_b32 v[16:17], v22 offset1:32
	ds_read2_b32 v[18:19], v22 offset0:64 offset1:96
	ds_read2_b32 v[20:21], v22 offset0:128 offset1:160
	;; [unrolled: 1-line block ×3, first 2 shown]
	v_add_co_u32 v24, vcc_lo, v24, v27
	ds_read2_b32 v[26:27], v32 offset1:32
	ds_read2_b32 v[28:29], v32 offset0:64 offset1:96
	ds_read2_b32 v[30:31], v32 offset0:128 offset1:160
	;; [unrolled: 1-line block ×3, first 2 shown]
	v_add_co_ci_u32_e64 v25, null, 0, v25, vcc_lo
	s_waitcnt lgkmcnt(15)
	global_store_dword v[24:25], v0, off
	global_store_dword v[24:25], v1, off offset:128
	s_waitcnt lgkmcnt(14)
	global_store_dword v[24:25], v2, off offset:256
	global_store_dword v[24:25], v3, off offset:384
	s_waitcnt lgkmcnt(13)
	global_store_dword v[24:25], v4, off offset:512
	;; [unrolled: 3-line block ×5, first 2 shown]
	global_store_dword v[24:25], v11, off offset:1408
	v_add_co_u32 v0, vcc_lo, 0x800, v24
	v_add_co_ci_u32_e64 v1, null, 0, v25, vcc_lo
	s_waitcnt lgkmcnt(9)
	global_store_dword v[24:25], v12, off offset:1536
	global_store_dword v[24:25], v13, off offset:1664
	s_waitcnt lgkmcnt(8)
	global_store_dword v[24:25], v14, off offset:1792
	global_store_dword v[24:25], v15, off offset:1920
	s_waitcnt lgkmcnt(7)
	global_store_dword v[0:1], v16, off
	global_store_dword v[0:1], v17, off offset:128
	s_waitcnt lgkmcnt(6)
	global_store_dword v[0:1], v18, off offset:256
	global_store_dword v[0:1], v19, off offset:384
	s_waitcnt lgkmcnt(5)
	global_store_dword v[0:1], v20, off offset:512
	;; [unrolled: 3-line block ×7, first 2 shown]
	global_store_dword v[0:1], v33, off offset:1920
	s_endpgm
	.section	.rodata,"a",@progbits
	.p2align	6, 0x0
	.amdhsa_kernel _Z17warp_store_kernelILj256ELj32ELj32ELN6hipcub18WarpStoreAlgorithmE3EiEvPT3_
		.amdhsa_group_segment_fixed_size 32768
		.amdhsa_private_segment_fixed_size 0
		.amdhsa_kernarg_size 8
		.amdhsa_user_sgpr_count 6
		.amdhsa_user_sgpr_private_segment_buffer 1
		.amdhsa_user_sgpr_dispatch_ptr 0
		.amdhsa_user_sgpr_queue_ptr 0
		.amdhsa_user_sgpr_kernarg_segment_ptr 1
		.amdhsa_user_sgpr_dispatch_id 0
		.amdhsa_user_sgpr_flat_scratch_init 0
		.amdhsa_user_sgpr_private_segment_size 0
		.amdhsa_wavefront_size32 1
		.amdhsa_uses_dynamic_stack 0
		.amdhsa_system_sgpr_private_segment_wavefront_offset 0
		.amdhsa_system_sgpr_workgroup_id_x 1
		.amdhsa_system_sgpr_workgroup_id_y 0
		.amdhsa_system_sgpr_workgroup_id_z 0
		.amdhsa_system_sgpr_workgroup_info 0
		.amdhsa_system_vgpr_workitem_id 0
		.amdhsa_next_free_vgpr 113
		.amdhsa_next_free_sgpr 7
		.amdhsa_reserve_vcc 1
		.amdhsa_reserve_flat_scratch 0
		.amdhsa_float_round_mode_32 0
		.amdhsa_float_round_mode_16_64 0
		.amdhsa_float_denorm_mode_32 3
		.amdhsa_float_denorm_mode_16_64 3
		.amdhsa_dx10_clamp 1
		.amdhsa_ieee_mode 1
		.amdhsa_fp16_overflow 0
		.amdhsa_workgroup_processor_mode 1
		.amdhsa_memory_ordered 1
		.amdhsa_forward_progress 1
		.amdhsa_shared_vgpr_count 0
		.amdhsa_exception_fp_ieee_invalid_op 0
		.amdhsa_exception_fp_denorm_src 0
		.amdhsa_exception_fp_ieee_div_zero 0
		.amdhsa_exception_fp_ieee_overflow 0
		.amdhsa_exception_fp_ieee_underflow 0
		.amdhsa_exception_fp_ieee_inexact 0
		.amdhsa_exception_int_div_zero 0
	.end_amdhsa_kernel
	.section	.text._Z17warp_store_kernelILj256ELj32ELj32ELN6hipcub18WarpStoreAlgorithmE3EiEvPT3_,"axG",@progbits,_Z17warp_store_kernelILj256ELj32ELj32ELN6hipcub18WarpStoreAlgorithmE3EiEvPT3_,comdat
.Lfunc_end15:
	.size	_Z17warp_store_kernelILj256ELj32ELj32ELN6hipcub18WarpStoreAlgorithmE3EiEvPT3_, .Lfunc_end15-_Z17warp_store_kernelILj256ELj32ELj32ELN6hipcub18WarpStoreAlgorithmE3EiEvPT3_
                                        ; -- End function
	.set _Z17warp_store_kernelILj256ELj32ELj32ELN6hipcub18WarpStoreAlgorithmE3EiEvPT3_.num_vgpr, 34
	.set _Z17warp_store_kernelILj256ELj32ELj32ELN6hipcub18WarpStoreAlgorithmE3EiEvPT3_.num_agpr, 0
	.set _Z17warp_store_kernelILj256ELj32ELj32ELN6hipcub18WarpStoreAlgorithmE3EiEvPT3_.numbered_sgpr, 7
	.set _Z17warp_store_kernelILj256ELj32ELj32ELN6hipcub18WarpStoreAlgorithmE3EiEvPT3_.num_named_barrier, 0
	.set _Z17warp_store_kernelILj256ELj32ELj32ELN6hipcub18WarpStoreAlgorithmE3EiEvPT3_.private_seg_size, 0
	.set _Z17warp_store_kernelILj256ELj32ELj32ELN6hipcub18WarpStoreAlgorithmE3EiEvPT3_.uses_vcc, 1
	.set _Z17warp_store_kernelILj256ELj32ELj32ELN6hipcub18WarpStoreAlgorithmE3EiEvPT3_.uses_flat_scratch, 0
	.set _Z17warp_store_kernelILj256ELj32ELj32ELN6hipcub18WarpStoreAlgorithmE3EiEvPT3_.has_dyn_sized_stack, 0
	.set _Z17warp_store_kernelILj256ELj32ELj32ELN6hipcub18WarpStoreAlgorithmE3EiEvPT3_.has_recursion, 0
	.set _Z17warp_store_kernelILj256ELj32ELj32ELN6hipcub18WarpStoreAlgorithmE3EiEvPT3_.has_indirect_call, 0
	.section	.AMDGPU.csdata,"",@progbits
; Kernel info:
; codeLenInByte = 796
; TotalNumSgprs: 9
; NumVgprs: 34
; ScratchSize: 0
; MemoryBound: 1
; FloatMode: 240
; IeeeMode: 1
; LDSByteSize: 32768 bytes/workgroup (compile time only)
; SGPRBlocks: 0
; VGPRBlocks: 14
; NumSGPRsForWavesPerEU: 9
; NumVGPRsForWavesPerEU: 113
; Occupancy: 8
; WaveLimiterHint : 1
; COMPUTE_PGM_RSRC2:SCRATCH_EN: 0
; COMPUTE_PGM_RSRC2:USER_SGPR: 6
; COMPUTE_PGM_RSRC2:TRAP_HANDLER: 0
; COMPUTE_PGM_RSRC2:TGID_X_EN: 1
; COMPUTE_PGM_RSRC2:TGID_Y_EN: 0
; COMPUTE_PGM_RSRC2:TGID_Z_EN: 0
; COMPUTE_PGM_RSRC2:TIDIG_COMP_CNT: 0
	.section	.text._Z17warp_store_kernelILj256ELj64ELj32ELN6hipcub18WarpStoreAlgorithmE0EiEvPT3_,"axG",@progbits,_Z17warp_store_kernelILj256ELj64ELj32ELN6hipcub18WarpStoreAlgorithmE0EiEvPT3_,comdat
	.protected	_Z17warp_store_kernelILj256ELj64ELj32ELN6hipcub18WarpStoreAlgorithmE0EiEvPT3_ ; -- Begin function _Z17warp_store_kernelILj256ELj64ELj32ELN6hipcub18WarpStoreAlgorithmE0EiEvPT3_
	.globl	_Z17warp_store_kernelILj256ELj64ELj32ELN6hipcub18WarpStoreAlgorithmE0EiEvPT3_
	.p2align	8
	.type	_Z17warp_store_kernelILj256ELj64ELj32ELN6hipcub18WarpStoreAlgorithmE0EiEvPT3_,@function
_Z17warp_store_kernelILj256ELj64ELj32ELN6hipcub18WarpStoreAlgorithmE0EiEvPT3_: ; @_Z17warp_store_kernelILj256ELj64ELj32ELN6hipcub18WarpStoreAlgorithmE0EiEvPT3_
; %bb.0:
	s_load_dwordx2 s[0:1], s[4:5], 0x0
	v_lshlrev_b32_e32 v0, 6, v0
	s_lshl_b32 s2, s6, 14
	v_mov_b32_e32 v9, 0
	v_mbcnt_lo_u32_b32 v12, -1, 0
	v_mov_b32_e32 v1, 1
	v_and_or_b32 v8, 0x3800, v0, s2
	v_mov_b32_e32 v2, 2
	v_mov_b32_e32 v3, 3
	v_lshlrev_b32_e32 v12, 8, v12
	v_mov_b32_e32 v0, v9
	v_lshlrev_b64 v[10:11], 2, v[8:9]
	v_mov_b32_e32 v4, 4
	v_mov_b32_e32 v5, 5
	v_mov_b32_e32 v6, 6
	v_mov_b32_e32 v7, 7
	v_mov_b32_e32 v8, 8
	v_mov_b32_e32 v9, 9
	v_mov_b32_e32 v13, 13
	v_mov_b32_e32 v14, 14
	s_waitcnt lgkmcnt(0)
	v_add_co_u32 v10, vcc_lo, s0, v10
	v_add_co_ci_u32_e64 v11, null, s1, v11, vcc_lo
	v_mov_b32_e32 v15, 15
	v_add_co_u32 v20, vcc_lo, v10, v12
	v_add_co_ci_u32_e64 v21, null, 0, v11, vcc_lo
	v_mov_b32_e32 v10, 10
	v_mov_b32_e32 v11, 11
	;; [unrolled: 1-line block ×3, first 2 shown]
	global_store_dwordx4 v[20:21], v[0:3], off
	v_mov_b32_e32 v0, 16
	v_mov_b32_e32 v1, 17
	;; [unrolled: 1-line block ×8, first 2 shown]
	global_store_dwordx4 v[20:21], v[4:7], off offset:16
	global_store_dwordx4 v[20:21], v[8:11], off offset:32
	;; [unrolled: 1-line block ×5, first 2 shown]
	v_mov_b32_e32 v0, 24
	v_mov_b32_e32 v1, 25
	;; [unrolled: 1-line block ×20, first 2 shown]
	global_store_dwordx4 v[20:21], v[0:3], off offset:96
	global_store_dwordx4 v[20:21], v[4:7], off offset:112
	;; [unrolled: 1-line block ×5, first 2 shown]
	v_mov_b32_e32 v0, 44
	v_mov_b32_e32 v1, 45
	;; [unrolled: 1-line block ×20, first 2 shown]
	global_store_dwordx4 v[20:21], v[0:3], off offset:176
	global_store_dwordx4 v[20:21], v[4:7], off offset:192
	;; [unrolled: 1-line block ×5, first 2 shown]
	s_endpgm
	.section	.rodata,"a",@progbits
	.p2align	6, 0x0
	.amdhsa_kernel _Z17warp_store_kernelILj256ELj64ELj32ELN6hipcub18WarpStoreAlgorithmE0EiEvPT3_
		.amdhsa_group_segment_fixed_size 0
		.amdhsa_private_segment_fixed_size 0
		.amdhsa_kernarg_size 8
		.amdhsa_user_sgpr_count 6
		.amdhsa_user_sgpr_private_segment_buffer 1
		.amdhsa_user_sgpr_dispatch_ptr 0
		.amdhsa_user_sgpr_queue_ptr 0
		.amdhsa_user_sgpr_kernarg_segment_ptr 1
		.amdhsa_user_sgpr_dispatch_id 0
		.amdhsa_user_sgpr_flat_scratch_init 0
		.amdhsa_user_sgpr_private_segment_size 0
		.amdhsa_wavefront_size32 1
		.amdhsa_uses_dynamic_stack 0
		.amdhsa_system_sgpr_private_segment_wavefront_offset 0
		.amdhsa_system_sgpr_workgroup_id_x 1
		.amdhsa_system_sgpr_workgroup_id_y 0
		.amdhsa_system_sgpr_workgroup_id_z 0
		.amdhsa_system_sgpr_workgroup_info 0
		.amdhsa_system_vgpr_workitem_id 0
		.amdhsa_next_free_vgpr 22
		.amdhsa_next_free_sgpr 7
		.amdhsa_reserve_vcc 1
		.amdhsa_reserve_flat_scratch 0
		.amdhsa_float_round_mode_32 0
		.amdhsa_float_round_mode_16_64 0
		.amdhsa_float_denorm_mode_32 3
		.amdhsa_float_denorm_mode_16_64 3
		.amdhsa_dx10_clamp 1
		.amdhsa_ieee_mode 1
		.amdhsa_fp16_overflow 0
		.amdhsa_workgroup_processor_mode 1
		.amdhsa_memory_ordered 1
		.amdhsa_forward_progress 1
		.amdhsa_shared_vgpr_count 0
		.amdhsa_exception_fp_ieee_invalid_op 0
		.amdhsa_exception_fp_denorm_src 0
		.amdhsa_exception_fp_ieee_div_zero 0
		.amdhsa_exception_fp_ieee_overflow 0
		.amdhsa_exception_fp_ieee_underflow 0
		.amdhsa_exception_fp_ieee_inexact 0
		.amdhsa_exception_int_div_zero 0
	.end_amdhsa_kernel
	.section	.text._Z17warp_store_kernelILj256ELj64ELj32ELN6hipcub18WarpStoreAlgorithmE0EiEvPT3_,"axG",@progbits,_Z17warp_store_kernelILj256ELj64ELj32ELN6hipcub18WarpStoreAlgorithmE0EiEvPT3_,comdat
.Lfunc_end16:
	.size	_Z17warp_store_kernelILj256ELj64ELj32ELN6hipcub18WarpStoreAlgorithmE0EiEvPT3_, .Lfunc_end16-_Z17warp_store_kernelILj256ELj64ELj32ELN6hipcub18WarpStoreAlgorithmE0EiEvPT3_
                                        ; -- End function
	.set _Z17warp_store_kernelILj256ELj64ELj32ELN6hipcub18WarpStoreAlgorithmE0EiEvPT3_.num_vgpr, 22
	.set _Z17warp_store_kernelILj256ELj64ELj32ELN6hipcub18WarpStoreAlgorithmE0EiEvPT3_.num_agpr, 0
	.set _Z17warp_store_kernelILj256ELj64ELj32ELN6hipcub18WarpStoreAlgorithmE0EiEvPT3_.numbered_sgpr, 7
	.set _Z17warp_store_kernelILj256ELj64ELj32ELN6hipcub18WarpStoreAlgorithmE0EiEvPT3_.num_named_barrier, 0
	.set _Z17warp_store_kernelILj256ELj64ELj32ELN6hipcub18WarpStoreAlgorithmE0EiEvPT3_.private_seg_size, 0
	.set _Z17warp_store_kernelILj256ELj64ELj32ELN6hipcub18WarpStoreAlgorithmE0EiEvPT3_.uses_vcc, 1
	.set _Z17warp_store_kernelILj256ELj64ELj32ELN6hipcub18WarpStoreAlgorithmE0EiEvPT3_.uses_flat_scratch, 0
	.set _Z17warp_store_kernelILj256ELj64ELj32ELN6hipcub18WarpStoreAlgorithmE0EiEvPT3_.has_dyn_sized_stack, 0
	.set _Z17warp_store_kernelILj256ELj64ELj32ELN6hipcub18WarpStoreAlgorithmE0EiEvPT3_.has_recursion, 0
	.set _Z17warp_store_kernelILj256ELj64ELj32ELN6hipcub18WarpStoreAlgorithmE0EiEvPT3_.has_indirect_call, 0
	.section	.AMDGPU.csdata,"",@progbits
; Kernel info:
; codeLenInByte = 476
; TotalNumSgprs: 9
; NumVgprs: 22
; ScratchSize: 0
; MemoryBound: 1
; FloatMode: 240
; IeeeMode: 1
; LDSByteSize: 0 bytes/workgroup (compile time only)
; SGPRBlocks: 0
; VGPRBlocks: 2
; NumSGPRsForWavesPerEU: 9
; NumVGPRsForWavesPerEU: 22
; Occupancy: 16
; WaveLimiterHint : 1
; COMPUTE_PGM_RSRC2:SCRATCH_EN: 0
; COMPUTE_PGM_RSRC2:USER_SGPR: 6
; COMPUTE_PGM_RSRC2:TRAP_HANDLER: 0
; COMPUTE_PGM_RSRC2:TGID_X_EN: 1
; COMPUTE_PGM_RSRC2:TGID_Y_EN: 0
; COMPUTE_PGM_RSRC2:TGID_Z_EN: 0
; COMPUTE_PGM_RSRC2:TIDIG_COMP_CNT: 0
	.section	.text._Z17warp_store_kernelILj256ELj64ELj32ELN6hipcub18WarpStoreAlgorithmE1EiEvPT3_,"axG",@progbits,_Z17warp_store_kernelILj256ELj64ELj32ELN6hipcub18WarpStoreAlgorithmE1EiEvPT3_,comdat
	.protected	_Z17warp_store_kernelILj256ELj64ELj32ELN6hipcub18WarpStoreAlgorithmE1EiEvPT3_ ; -- Begin function _Z17warp_store_kernelILj256ELj64ELj32ELN6hipcub18WarpStoreAlgorithmE1EiEvPT3_
	.globl	_Z17warp_store_kernelILj256ELj64ELj32ELN6hipcub18WarpStoreAlgorithmE1EiEvPT3_
	.p2align	8
	.type	_Z17warp_store_kernelILj256ELj64ELj32ELN6hipcub18WarpStoreAlgorithmE1EiEvPT3_,@function
_Z17warp_store_kernelILj256ELj64ELj32ELN6hipcub18WarpStoreAlgorithmE1EiEvPT3_: ; @_Z17warp_store_kernelILj256ELj64ELj32ELN6hipcub18WarpStoreAlgorithmE1EiEvPT3_
; %bb.0:
	s_load_dwordx2 s[0:1], s[4:5], 0x0
	v_lshlrev_b32_e32 v0, 6, v0
	s_lshl_b32 s2, s6, 14
	v_mov_b32_e32 v1, 0
	v_mbcnt_lo_u32_b32 v4, -1, 0
	v_mov_b32_e32 v6, 1
	v_and_or_b32 v0, 0x3800, v0, s2
	v_mov_b32_e32 v5, 2
	v_mov_b32_e32 v7, 3
	v_lshlrev_b32_e32 v4, 2, v4
	v_mov_b32_e32 v8, 5
	v_lshlrev_b64 v[2:3], 2, v[0:1]
	v_mov_b32_e32 v0, 6
	v_mov_b32_e32 v9, 7
	v_mov_b32_e32 v10, 8
	v_mov_b32_e32 v11, 32
	v_mov_b32_e32 v12, 33
	s_waitcnt lgkmcnt(0)
	v_add_co_u32 v2, vcc_lo, s0, v2
	v_add_co_ci_u32_e64 v3, null, s1, v3, vcc_lo
	v_add_co_u32 v2, vcc_lo, v2, v4
	v_add_co_ci_u32_e64 v3, null, 0, v3, vcc_lo
	v_mov_b32_e32 v4, 4
	global_store_dword v[2:3], v1, off
	global_store_dword v[2:3], v6, off offset:128
	global_store_dword v[2:3], v5, off offset:256
	;; [unrolled: 1-line block ×8, first 2 shown]
	v_mov_b32_e32 v0, 9
	v_mov_b32_e32 v1, 10
	;; [unrolled: 1-line block ×5, first 2 shown]
	global_store_dword v[2:3], v0, off offset:1152
	global_store_dword v[2:3], v1, off offset:1280
	;; [unrolled: 1-line block ×5, first 2 shown]
	v_add_co_u32 v0, vcc_lo, 0x800, v2
	v_mov_b32_e32 v6, 14
	v_add_co_ci_u32_e64 v1, null, 0, v3, vcc_lo
	v_add_co_u32 v4, vcc_lo, v2, 0x1000
	v_mov_b32_e32 v7, 15
	v_mov_b32_e32 v8, 16
	v_add_co_ci_u32_e64 v5, null, 0, v3, vcc_lo
	v_mov_b32_e32 v9, 17
	v_mov_b32_e32 v10, 18
	global_store_dword v[2:3], v6, off offset:1792
	global_store_dword v[2:3], v7, off offset:1920
	global_store_dword v[4:5], v8, off offset:-2048
	global_store_dword v[0:1], v9, off offset:128
	global_store_dword v[0:1], v10, off offset:256
	v_mov_b32_e32 v6, 19
	v_mov_b32_e32 v7, 20
	;; [unrolled: 1-line block ×5, first 2 shown]
	global_store_dword v[0:1], v6, off offset:384
	global_store_dword v[0:1], v7, off offset:512
	global_store_dword v[0:1], v8, off offset:640
	global_store_dword v[0:1], v9, off offset:768
	global_store_dword v[0:1], v10, off offset:896
	v_mov_b32_e32 v6, 24
	v_mov_b32_e32 v7, 25
	;; [unrolled: 1-line block ×5, first 2 shown]
	global_store_dword v[0:1], v6, off offset:1024
	global_store_dword v[0:1], v7, off offset:1152
	;; [unrolled: 1-line block ×5, first 2 shown]
	v_mov_b32_e32 v8, 29
	v_mov_b32_e32 v9, 30
	;; [unrolled: 1-line block ×3, first 2 shown]
	v_add_co_u32 v6, vcc_lo, 0x1000, v2
	v_add_co_ci_u32_e64 v7, null, 0, v3, vcc_lo
	global_store_dword v[0:1], v8, off offset:1664
	global_store_dword v[0:1], v9, off offset:1792
	global_store_dword v[0:1], v10, off offset:1920
	global_store_dword v[4:5], v11, off
	global_store_dword v[6:7], v12, off offset:128
	v_mov_b32_e32 v0, 34
	v_mov_b32_e32 v1, 35
	;; [unrolled: 1-line block ×5, first 2 shown]
	global_store_dword v[6:7], v0, off offset:256
	global_store_dword v[6:7], v1, off offset:384
	;; [unrolled: 1-line block ×5, first 2 shown]
	v_mov_b32_e32 v0, 39
	v_mov_b32_e32 v1, 40
	;; [unrolled: 1-line block ×5, first 2 shown]
	global_store_dword v[6:7], v0, off offset:896
	global_store_dword v[6:7], v1, off offset:1024
	;; [unrolled: 1-line block ×5, first 2 shown]
	v_mov_b32_e32 v4, 44
	v_mov_b32_e32 v5, 45
	v_mov_b32_e32 v8, 46
	v_add_co_u32 v0, vcc_lo, 0x1800, v2
	v_mov_b32_e32 v9, 47
	v_add_co_ci_u32_e64 v1, null, 0, v3, vcc_lo
	v_mov_b32_e32 v2, 48
	global_store_dword v[6:7], v4, off offset:1536
	global_store_dword v[6:7], v5, off offset:1664
	;; [unrolled: 1-line block ×4, first 2 shown]
	global_store_dword v[0:1], v2, off
	v_mov_b32_e32 v2, 49
	v_mov_b32_e32 v3, 50
	v_mov_b32_e32 v4, 51
	v_mov_b32_e32 v5, 52
	v_mov_b32_e32 v6, 53
	global_store_dword v[0:1], v2, off offset:128
	global_store_dword v[0:1], v3, off offset:256
	global_store_dword v[0:1], v4, off offset:384
	global_store_dword v[0:1], v5, off offset:512
	global_store_dword v[0:1], v6, off offset:640
	v_mov_b32_e32 v2, 54
	v_mov_b32_e32 v3, 55
	v_mov_b32_e32 v4, 56
	v_mov_b32_e32 v5, 57
	v_mov_b32_e32 v6, 58
	global_store_dword v[0:1], v2, off offset:768
	global_store_dword v[0:1], v3, off offset:896
	global_store_dword v[0:1], v4, off offset:1024
	global_store_dword v[0:1], v5, off offset:1152
	global_store_dword v[0:1], v6, off offset:1280
	;; [unrolled: 10-line block ×3, first 2 shown]
	s_endpgm
	.section	.rodata,"a",@progbits
	.p2align	6, 0x0
	.amdhsa_kernel _Z17warp_store_kernelILj256ELj64ELj32ELN6hipcub18WarpStoreAlgorithmE1EiEvPT3_
		.amdhsa_group_segment_fixed_size 0
		.amdhsa_private_segment_fixed_size 0
		.amdhsa_kernarg_size 8
		.amdhsa_user_sgpr_count 6
		.amdhsa_user_sgpr_private_segment_buffer 1
		.amdhsa_user_sgpr_dispatch_ptr 0
		.amdhsa_user_sgpr_queue_ptr 0
		.amdhsa_user_sgpr_kernarg_segment_ptr 1
		.amdhsa_user_sgpr_dispatch_id 0
		.amdhsa_user_sgpr_flat_scratch_init 0
		.amdhsa_user_sgpr_private_segment_size 0
		.amdhsa_wavefront_size32 1
		.amdhsa_uses_dynamic_stack 0
		.amdhsa_system_sgpr_private_segment_wavefront_offset 0
		.amdhsa_system_sgpr_workgroup_id_x 1
		.amdhsa_system_sgpr_workgroup_id_y 0
		.amdhsa_system_sgpr_workgroup_id_z 0
		.amdhsa_system_sgpr_workgroup_info 0
		.amdhsa_system_vgpr_workitem_id 0
		.amdhsa_next_free_vgpr 13
		.amdhsa_next_free_sgpr 7
		.amdhsa_reserve_vcc 1
		.amdhsa_reserve_flat_scratch 0
		.amdhsa_float_round_mode_32 0
		.amdhsa_float_round_mode_16_64 0
		.amdhsa_float_denorm_mode_32 3
		.amdhsa_float_denorm_mode_16_64 3
		.amdhsa_dx10_clamp 1
		.amdhsa_ieee_mode 1
		.amdhsa_fp16_overflow 0
		.amdhsa_workgroup_processor_mode 1
		.amdhsa_memory_ordered 1
		.amdhsa_forward_progress 1
		.amdhsa_shared_vgpr_count 0
		.amdhsa_exception_fp_ieee_invalid_op 0
		.amdhsa_exception_fp_denorm_src 0
		.amdhsa_exception_fp_ieee_div_zero 0
		.amdhsa_exception_fp_ieee_overflow 0
		.amdhsa_exception_fp_ieee_underflow 0
		.amdhsa_exception_fp_ieee_inexact 0
		.amdhsa_exception_int_div_zero 0
	.end_amdhsa_kernel
	.section	.text._Z17warp_store_kernelILj256ELj64ELj32ELN6hipcub18WarpStoreAlgorithmE1EiEvPT3_,"axG",@progbits,_Z17warp_store_kernelILj256ELj64ELj32ELN6hipcub18WarpStoreAlgorithmE1EiEvPT3_,comdat
.Lfunc_end17:
	.size	_Z17warp_store_kernelILj256ELj64ELj32ELN6hipcub18WarpStoreAlgorithmE1EiEvPT3_, .Lfunc_end17-_Z17warp_store_kernelILj256ELj64ELj32ELN6hipcub18WarpStoreAlgorithmE1EiEvPT3_
                                        ; -- End function
	.set _Z17warp_store_kernelILj256ELj64ELj32ELN6hipcub18WarpStoreAlgorithmE1EiEvPT3_.num_vgpr, 13
	.set _Z17warp_store_kernelILj256ELj64ELj32ELN6hipcub18WarpStoreAlgorithmE1EiEvPT3_.num_agpr, 0
	.set _Z17warp_store_kernelILj256ELj64ELj32ELN6hipcub18WarpStoreAlgorithmE1EiEvPT3_.numbered_sgpr, 7
	.set _Z17warp_store_kernelILj256ELj64ELj32ELN6hipcub18WarpStoreAlgorithmE1EiEvPT3_.num_named_barrier, 0
	.set _Z17warp_store_kernelILj256ELj64ELj32ELN6hipcub18WarpStoreAlgorithmE1EiEvPT3_.private_seg_size, 0
	.set _Z17warp_store_kernelILj256ELj64ELj32ELN6hipcub18WarpStoreAlgorithmE1EiEvPT3_.uses_vcc, 1
	.set _Z17warp_store_kernelILj256ELj64ELj32ELN6hipcub18WarpStoreAlgorithmE1EiEvPT3_.uses_flat_scratch, 0
	.set _Z17warp_store_kernelILj256ELj64ELj32ELN6hipcub18WarpStoreAlgorithmE1EiEvPT3_.has_dyn_sized_stack, 0
	.set _Z17warp_store_kernelILj256ELj64ELj32ELN6hipcub18WarpStoreAlgorithmE1EiEvPT3_.has_recursion, 0
	.set _Z17warp_store_kernelILj256ELj64ELj32ELN6hipcub18WarpStoreAlgorithmE1EiEvPT3_.has_indirect_call, 0
	.section	.AMDGPU.csdata,"",@progbits
; Kernel info:
; codeLenInByte = 936
; TotalNumSgprs: 9
; NumVgprs: 13
; ScratchSize: 0
; MemoryBound: 1
; FloatMode: 240
; IeeeMode: 1
; LDSByteSize: 0 bytes/workgroup (compile time only)
; SGPRBlocks: 0
; VGPRBlocks: 1
; NumSGPRsForWavesPerEU: 9
; NumVGPRsForWavesPerEU: 13
; Occupancy: 16
; WaveLimiterHint : 1
; COMPUTE_PGM_RSRC2:SCRATCH_EN: 0
; COMPUTE_PGM_RSRC2:USER_SGPR: 6
; COMPUTE_PGM_RSRC2:TRAP_HANDLER: 0
; COMPUTE_PGM_RSRC2:TGID_X_EN: 1
; COMPUTE_PGM_RSRC2:TGID_Y_EN: 0
; COMPUTE_PGM_RSRC2:TGID_Z_EN: 0
; COMPUTE_PGM_RSRC2:TIDIG_COMP_CNT: 0
	.section	.text._Z17warp_store_kernelILj256ELj64ELj32ELN6hipcub18WarpStoreAlgorithmE2EiEvPT3_,"axG",@progbits,_Z17warp_store_kernelILj256ELj64ELj32ELN6hipcub18WarpStoreAlgorithmE2EiEvPT3_,comdat
	.protected	_Z17warp_store_kernelILj256ELj64ELj32ELN6hipcub18WarpStoreAlgorithmE2EiEvPT3_ ; -- Begin function _Z17warp_store_kernelILj256ELj64ELj32ELN6hipcub18WarpStoreAlgorithmE2EiEvPT3_
	.globl	_Z17warp_store_kernelILj256ELj64ELj32ELN6hipcub18WarpStoreAlgorithmE2EiEvPT3_
	.p2align	8
	.type	_Z17warp_store_kernelILj256ELj64ELj32ELN6hipcub18WarpStoreAlgorithmE2EiEvPT3_,@function
_Z17warp_store_kernelILj256ELj64ELj32ELN6hipcub18WarpStoreAlgorithmE2EiEvPT3_: ; @_Z17warp_store_kernelILj256ELj64ELj32ELN6hipcub18WarpStoreAlgorithmE2EiEvPT3_
; %bb.0:
	s_load_dwordx2 s[0:1], s[4:5], 0x0
	v_lshlrev_b32_e32 v0, 6, v0
	s_lshl_b32 s2, s6, 14
	v_mov_b32_e32 v9, 0
	v_mbcnt_lo_u32_b32 v12, -1, 0
	v_mov_b32_e32 v1, 1
	v_and_or_b32 v8, 0x3800, v0, s2
	v_mov_b32_e32 v2, 2
	v_mov_b32_e32 v3, 3
	v_lshlrev_b32_e32 v12, 8, v12
	v_mov_b32_e32 v0, v9
	v_lshlrev_b64 v[10:11], 2, v[8:9]
	v_mov_b32_e32 v4, 4
	v_mov_b32_e32 v5, 5
	;; [unrolled: 1-line block ×8, first 2 shown]
	s_waitcnt lgkmcnt(0)
	v_add_co_u32 v10, vcc_lo, s0, v10
	v_add_co_ci_u32_e64 v11, null, s1, v11, vcc_lo
	v_mov_b32_e32 v15, 15
	v_add_co_u32 v20, vcc_lo, v10, v12
	v_add_co_ci_u32_e64 v21, null, 0, v11, vcc_lo
	v_mov_b32_e32 v10, 10
	v_mov_b32_e32 v11, 11
	;; [unrolled: 1-line block ×3, first 2 shown]
	global_store_dwordx4 v[20:21], v[0:3], off
	v_mov_b32_e32 v0, 16
	v_mov_b32_e32 v1, 17
	;; [unrolled: 1-line block ×8, first 2 shown]
	global_store_dwordx4 v[20:21], v[4:7], off offset:16
	global_store_dwordx4 v[20:21], v[8:11], off offset:32
	global_store_dwordx4 v[20:21], v[12:15], off offset:48
	global_store_dwordx4 v[20:21], v[0:3], off offset:64
	global_store_dwordx4 v[20:21], v[16:19], off offset:80
	v_mov_b32_e32 v0, 24
	v_mov_b32_e32 v1, 25
	;; [unrolled: 1-line block ×20, first 2 shown]
	global_store_dwordx4 v[20:21], v[0:3], off offset:96
	global_store_dwordx4 v[20:21], v[4:7], off offset:112
	;; [unrolled: 1-line block ×5, first 2 shown]
	v_mov_b32_e32 v0, 44
	v_mov_b32_e32 v1, 45
	;; [unrolled: 1-line block ×20, first 2 shown]
	global_store_dwordx4 v[20:21], v[0:3], off offset:176
	global_store_dwordx4 v[20:21], v[4:7], off offset:192
	;; [unrolled: 1-line block ×5, first 2 shown]
	s_endpgm
	.section	.rodata,"a",@progbits
	.p2align	6, 0x0
	.amdhsa_kernel _Z17warp_store_kernelILj256ELj64ELj32ELN6hipcub18WarpStoreAlgorithmE2EiEvPT3_
		.amdhsa_group_segment_fixed_size 0
		.amdhsa_private_segment_fixed_size 0
		.amdhsa_kernarg_size 8
		.amdhsa_user_sgpr_count 6
		.amdhsa_user_sgpr_private_segment_buffer 1
		.amdhsa_user_sgpr_dispatch_ptr 0
		.amdhsa_user_sgpr_queue_ptr 0
		.amdhsa_user_sgpr_kernarg_segment_ptr 1
		.amdhsa_user_sgpr_dispatch_id 0
		.amdhsa_user_sgpr_flat_scratch_init 0
		.amdhsa_user_sgpr_private_segment_size 0
		.amdhsa_wavefront_size32 1
		.amdhsa_uses_dynamic_stack 0
		.amdhsa_system_sgpr_private_segment_wavefront_offset 0
		.amdhsa_system_sgpr_workgroup_id_x 1
		.amdhsa_system_sgpr_workgroup_id_y 0
		.amdhsa_system_sgpr_workgroup_id_z 0
		.amdhsa_system_sgpr_workgroup_info 0
		.amdhsa_system_vgpr_workitem_id 0
		.amdhsa_next_free_vgpr 22
		.amdhsa_next_free_sgpr 7
		.amdhsa_reserve_vcc 1
		.amdhsa_reserve_flat_scratch 0
		.amdhsa_float_round_mode_32 0
		.amdhsa_float_round_mode_16_64 0
		.amdhsa_float_denorm_mode_32 3
		.amdhsa_float_denorm_mode_16_64 3
		.amdhsa_dx10_clamp 1
		.amdhsa_ieee_mode 1
		.amdhsa_fp16_overflow 0
		.amdhsa_workgroup_processor_mode 1
		.amdhsa_memory_ordered 1
		.amdhsa_forward_progress 1
		.amdhsa_shared_vgpr_count 0
		.amdhsa_exception_fp_ieee_invalid_op 0
		.amdhsa_exception_fp_denorm_src 0
		.amdhsa_exception_fp_ieee_div_zero 0
		.amdhsa_exception_fp_ieee_overflow 0
		.amdhsa_exception_fp_ieee_underflow 0
		.amdhsa_exception_fp_ieee_inexact 0
		.amdhsa_exception_int_div_zero 0
	.end_amdhsa_kernel
	.section	.text._Z17warp_store_kernelILj256ELj64ELj32ELN6hipcub18WarpStoreAlgorithmE2EiEvPT3_,"axG",@progbits,_Z17warp_store_kernelILj256ELj64ELj32ELN6hipcub18WarpStoreAlgorithmE2EiEvPT3_,comdat
.Lfunc_end18:
	.size	_Z17warp_store_kernelILj256ELj64ELj32ELN6hipcub18WarpStoreAlgorithmE2EiEvPT3_, .Lfunc_end18-_Z17warp_store_kernelILj256ELj64ELj32ELN6hipcub18WarpStoreAlgorithmE2EiEvPT3_
                                        ; -- End function
	.set _Z17warp_store_kernelILj256ELj64ELj32ELN6hipcub18WarpStoreAlgorithmE2EiEvPT3_.num_vgpr, 22
	.set _Z17warp_store_kernelILj256ELj64ELj32ELN6hipcub18WarpStoreAlgorithmE2EiEvPT3_.num_agpr, 0
	.set _Z17warp_store_kernelILj256ELj64ELj32ELN6hipcub18WarpStoreAlgorithmE2EiEvPT3_.numbered_sgpr, 7
	.set _Z17warp_store_kernelILj256ELj64ELj32ELN6hipcub18WarpStoreAlgorithmE2EiEvPT3_.num_named_barrier, 0
	.set _Z17warp_store_kernelILj256ELj64ELj32ELN6hipcub18WarpStoreAlgorithmE2EiEvPT3_.private_seg_size, 0
	.set _Z17warp_store_kernelILj256ELj64ELj32ELN6hipcub18WarpStoreAlgorithmE2EiEvPT3_.uses_vcc, 1
	.set _Z17warp_store_kernelILj256ELj64ELj32ELN6hipcub18WarpStoreAlgorithmE2EiEvPT3_.uses_flat_scratch, 0
	.set _Z17warp_store_kernelILj256ELj64ELj32ELN6hipcub18WarpStoreAlgorithmE2EiEvPT3_.has_dyn_sized_stack, 0
	.set _Z17warp_store_kernelILj256ELj64ELj32ELN6hipcub18WarpStoreAlgorithmE2EiEvPT3_.has_recursion, 0
	.set _Z17warp_store_kernelILj256ELj64ELj32ELN6hipcub18WarpStoreAlgorithmE2EiEvPT3_.has_indirect_call, 0
	.section	.AMDGPU.csdata,"",@progbits
; Kernel info:
; codeLenInByte = 476
; TotalNumSgprs: 9
; NumVgprs: 22
; ScratchSize: 0
; MemoryBound: 1
; FloatMode: 240
; IeeeMode: 1
; LDSByteSize: 0 bytes/workgroup (compile time only)
; SGPRBlocks: 0
; VGPRBlocks: 2
; NumSGPRsForWavesPerEU: 9
; NumVGPRsForWavesPerEU: 22
; Occupancy: 16
; WaveLimiterHint : 1
; COMPUTE_PGM_RSRC2:SCRATCH_EN: 0
; COMPUTE_PGM_RSRC2:USER_SGPR: 6
; COMPUTE_PGM_RSRC2:TRAP_HANDLER: 0
; COMPUTE_PGM_RSRC2:TGID_X_EN: 1
; COMPUTE_PGM_RSRC2:TGID_Y_EN: 0
; COMPUTE_PGM_RSRC2:TGID_Z_EN: 0
; COMPUTE_PGM_RSRC2:TIDIG_COMP_CNT: 0
	.section	.text._Z17warp_store_kernelILj256ELj4ELj32ELN6hipcub18WarpStoreAlgorithmE0EdEvPT3_,"axG",@progbits,_Z17warp_store_kernelILj256ELj4ELj32ELN6hipcub18WarpStoreAlgorithmE0EdEvPT3_,comdat
	.protected	_Z17warp_store_kernelILj256ELj4ELj32ELN6hipcub18WarpStoreAlgorithmE0EdEvPT3_ ; -- Begin function _Z17warp_store_kernelILj256ELj4ELj32ELN6hipcub18WarpStoreAlgorithmE0EdEvPT3_
	.globl	_Z17warp_store_kernelILj256ELj4ELj32ELN6hipcub18WarpStoreAlgorithmE0EdEvPT3_
	.p2align	8
	.type	_Z17warp_store_kernelILj256ELj4ELj32ELN6hipcub18WarpStoreAlgorithmE0EdEvPT3_,@function
_Z17warp_store_kernelILj256ELj4ELj32ELN6hipcub18WarpStoreAlgorithmE0EdEvPT3_: ; @_Z17warp_store_kernelILj256ELj4ELj32ELN6hipcub18WarpStoreAlgorithmE0EdEvPT3_
; %bb.0:
	s_load_dwordx2 s[0:1], s[4:5], 0x0
	v_lshlrev_b32_e32 v0, 2, v0
	s_lshl_b32 s2, s6, 10
	v_mov_b32_e32 v1, 0
	v_mbcnt_lo_u32_b32 v2, -1, 0
	v_mov_b32_e32 v3, 0x3ff00000
	v_and_or_b32 v0, 0x380, v0, s2
	v_mov_b32_e32 v5, 2.0
	v_mov_b32_e32 v7, 0x40080000
	v_lshlrev_b32_e32 v6, 5, v2
	v_mov_b32_e32 v2, v1
	v_lshlrev_b64 v[8:9], 3, v[0:1]
	v_mov_b32_e32 v0, v1
	v_mov_b32_e32 v4, v1
	s_waitcnt lgkmcnt(0)
	v_add_co_u32 v8, vcc_lo, s0, v8
	v_add_co_ci_u32_e64 v9, null, s1, v9, vcc_lo
	v_add_co_u32 v8, vcc_lo, v8, v6
	v_add_co_ci_u32_e64 v9, null, 0, v9, vcc_lo
	v_mov_b32_e32 v6, v1
	global_store_dwordx4 v[8:9], v[0:3], off
	global_store_dwordx4 v[8:9], v[4:7], off offset:16
	s_endpgm
	.section	.rodata,"a",@progbits
	.p2align	6, 0x0
	.amdhsa_kernel _Z17warp_store_kernelILj256ELj4ELj32ELN6hipcub18WarpStoreAlgorithmE0EdEvPT3_
		.amdhsa_group_segment_fixed_size 0
		.amdhsa_private_segment_fixed_size 0
		.amdhsa_kernarg_size 8
		.amdhsa_user_sgpr_count 6
		.amdhsa_user_sgpr_private_segment_buffer 1
		.amdhsa_user_sgpr_dispatch_ptr 0
		.amdhsa_user_sgpr_queue_ptr 0
		.amdhsa_user_sgpr_kernarg_segment_ptr 1
		.amdhsa_user_sgpr_dispatch_id 0
		.amdhsa_user_sgpr_flat_scratch_init 0
		.amdhsa_user_sgpr_private_segment_size 0
		.amdhsa_wavefront_size32 1
		.amdhsa_uses_dynamic_stack 0
		.amdhsa_system_sgpr_private_segment_wavefront_offset 0
		.amdhsa_system_sgpr_workgroup_id_x 1
		.amdhsa_system_sgpr_workgroup_id_y 0
		.amdhsa_system_sgpr_workgroup_id_z 0
		.amdhsa_system_sgpr_workgroup_info 0
		.amdhsa_system_vgpr_workitem_id 0
		.amdhsa_next_free_vgpr 10
		.amdhsa_next_free_sgpr 7
		.amdhsa_reserve_vcc 1
		.amdhsa_reserve_flat_scratch 0
		.amdhsa_float_round_mode_32 0
		.amdhsa_float_round_mode_16_64 0
		.amdhsa_float_denorm_mode_32 3
		.amdhsa_float_denorm_mode_16_64 3
		.amdhsa_dx10_clamp 1
		.amdhsa_ieee_mode 1
		.amdhsa_fp16_overflow 0
		.amdhsa_workgroup_processor_mode 1
		.amdhsa_memory_ordered 1
		.amdhsa_forward_progress 1
		.amdhsa_shared_vgpr_count 0
		.amdhsa_exception_fp_ieee_invalid_op 0
		.amdhsa_exception_fp_denorm_src 0
		.amdhsa_exception_fp_ieee_div_zero 0
		.amdhsa_exception_fp_ieee_overflow 0
		.amdhsa_exception_fp_ieee_underflow 0
		.amdhsa_exception_fp_ieee_inexact 0
		.amdhsa_exception_int_div_zero 0
	.end_amdhsa_kernel
	.section	.text._Z17warp_store_kernelILj256ELj4ELj32ELN6hipcub18WarpStoreAlgorithmE0EdEvPT3_,"axG",@progbits,_Z17warp_store_kernelILj256ELj4ELj32ELN6hipcub18WarpStoreAlgorithmE0EdEvPT3_,comdat
.Lfunc_end19:
	.size	_Z17warp_store_kernelILj256ELj4ELj32ELN6hipcub18WarpStoreAlgorithmE0EdEvPT3_, .Lfunc_end19-_Z17warp_store_kernelILj256ELj4ELj32ELN6hipcub18WarpStoreAlgorithmE0EdEvPT3_
                                        ; -- End function
	.set _Z17warp_store_kernelILj256ELj4ELj32ELN6hipcub18WarpStoreAlgorithmE0EdEvPT3_.num_vgpr, 10
	.set _Z17warp_store_kernelILj256ELj4ELj32ELN6hipcub18WarpStoreAlgorithmE0EdEvPT3_.num_agpr, 0
	.set _Z17warp_store_kernelILj256ELj4ELj32ELN6hipcub18WarpStoreAlgorithmE0EdEvPT3_.numbered_sgpr, 7
	.set _Z17warp_store_kernelILj256ELj4ELj32ELN6hipcub18WarpStoreAlgorithmE0EdEvPT3_.num_named_barrier, 0
	.set _Z17warp_store_kernelILj256ELj4ELj32ELN6hipcub18WarpStoreAlgorithmE0EdEvPT3_.private_seg_size, 0
	.set _Z17warp_store_kernelILj256ELj4ELj32ELN6hipcub18WarpStoreAlgorithmE0EdEvPT3_.uses_vcc, 1
	.set _Z17warp_store_kernelILj256ELj4ELj32ELN6hipcub18WarpStoreAlgorithmE0EdEvPT3_.uses_flat_scratch, 0
	.set _Z17warp_store_kernelILj256ELj4ELj32ELN6hipcub18WarpStoreAlgorithmE0EdEvPT3_.has_dyn_sized_stack, 0
	.set _Z17warp_store_kernelILj256ELj4ELj32ELN6hipcub18WarpStoreAlgorithmE0EdEvPT3_.has_recursion, 0
	.set _Z17warp_store_kernelILj256ELj4ELj32ELN6hipcub18WarpStoreAlgorithmE0EdEvPT3_.has_indirect_call, 0
	.section	.AMDGPU.csdata,"",@progbits
; Kernel info:
; codeLenInByte = 144
; TotalNumSgprs: 9
; NumVgprs: 10
; ScratchSize: 0
; MemoryBound: 0
; FloatMode: 240
; IeeeMode: 1
; LDSByteSize: 0 bytes/workgroup (compile time only)
; SGPRBlocks: 0
; VGPRBlocks: 1
; NumSGPRsForWavesPerEU: 9
; NumVGPRsForWavesPerEU: 10
; Occupancy: 16
; WaveLimiterHint : 0
; COMPUTE_PGM_RSRC2:SCRATCH_EN: 0
; COMPUTE_PGM_RSRC2:USER_SGPR: 6
; COMPUTE_PGM_RSRC2:TRAP_HANDLER: 0
; COMPUTE_PGM_RSRC2:TGID_X_EN: 1
; COMPUTE_PGM_RSRC2:TGID_Y_EN: 0
; COMPUTE_PGM_RSRC2:TGID_Z_EN: 0
; COMPUTE_PGM_RSRC2:TIDIG_COMP_CNT: 0
	.section	.text._Z17warp_store_kernelILj256ELj4ELj32ELN6hipcub18WarpStoreAlgorithmE1EdEvPT3_,"axG",@progbits,_Z17warp_store_kernelILj256ELj4ELj32ELN6hipcub18WarpStoreAlgorithmE1EdEvPT3_,comdat
	.protected	_Z17warp_store_kernelILj256ELj4ELj32ELN6hipcub18WarpStoreAlgorithmE1EdEvPT3_ ; -- Begin function _Z17warp_store_kernelILj256ELj4ELj32ELN6hipcub18WarpStoreAlgorithmE1EdEvPT3_
	.globl	_Z17warp_store_kernelILj256ELj4ELj32ELN6hipcub18WarpStoreAlgorithmE1EdEvPT3_
	.p2align	8
	.type	_Z17warp_store_kernelILj256ELj4ELj32ELN6hipcub18WarpStoreAlgorithmE1EdEvPT3_,@function
_Z17warp_store_kernelILj256ELj4ELj32ELN6hipcub18WarpStoreAlgorithmE1EdEvPT3_: ; @_Z17warp_store_kernelILj256ELj4ELj32ELN6hipcub18WarpStoreAlgorithmE1EdEvPT3_
; %bb.0:
	s_load_dwordx2 s[0:1], s[4:5], 0x0
	v_lshlrev_b32_e32 v0, 2, v0
	s_lshl_b32 s2, s6, 10
	v_mov_b32_e32 v1, 0
	v_mbcnt_lo_u32_b32 v5, -1, 0
	v_mov_b32_e32 v4, 0x3ff00000
	v_and_or_b32 v0, 0x380, v0, s2
	v_mov_b32_e32 v6, 2.0
	v_mov_b32_e32 v8, 0x40080000
	v_lshlrev_b32_e32 v5, 3, v5
	v_mov_b32_e32 v7, v1
	v_lshlrev_b64 v[2:3], 3, v[0:1]
	v_mov_b32_e32 v0, v1
	s_waitcnt lgkmcnt(0)
	v_add_co_u32 v2, vcc_lo, s0, v2
	v_add_co_ci_u32_e64 v3, null, s1, v3, vcc_lo
	v_add_co_u32 v9, vcc_lo, v2, v5
	v_add_co_ci_u32_e64 v10, null, 0, v3, vcc_lo
	v_mov_b32_e32 v3, v1
	v_mov_b32_e32 v5, v1
	global_store_dwordx2 v[9:10], v[0:1], off
	global_store_dwordx2 v[9:10], v[3:4], off offset:256
	global_store_dwordx2 v[9:10], v[5:6], off offset:512
	;; [unrolled: 1-line block ×3, first 2 shown]
	s_endpgm
	.section	.rodata,"a",@progbits
	.p2align	6, 0x0
	.amdhsa_kernel _Z17warp_store_kernelILj256ELj4ELj32ELN6hipcub18WarpStoreAlgorithmE1EdEvPT3_
		.amdhsa_group_segment_fixed_size 0
		.amdhsa_private_segment_fixed_size 0
		.amdhsa_kernarg_size 8
		.amdhsa_user_sgpr_count 6
		.amdhsa_user_sgpr_private_segment_buffer 1
		.amdhsa_user_sgpr_dispatch_ptr 0
		.amdhsa_user_sgpr_queue_ptr 0
		.amdhsa_user_sgpr_kernarg_segment_ptr 1
		.amdhsa_user_sgpr_dispatch_id 0
		.amdhsa_user_sgpr_flat_scratch_init 0
		.amdhsa_user_sgpr_private_segment_size 0
		.amdhsa_wavefront_size32 1
		.amdhsa_uses_dynamic_stack 0
		.amdhsa_system_sgpr_private_segment_wavefront_offset 0
		.amdhsa_system_sgpr_workgroup_id_x 1
		.amdhsa_system_sgpr_workgroup_id_y 0
		.amdhsa_system_sgpr_workgroup_id_z 0
		.amdhsa_system_sgpr_workgroup_info 0
		.amdhsa_system_vgpr_workitem_id 0
		.amdhsa_next_free_vgpr 11
		.amdhsa_next_free_sgpr 7
		.amdhsa_reserve_vcc 1
		.amdhsa_reserve_flat_scratch 0
		.amdhsa_float_round_mode_32 0
		.amdhsa_float_round_mode_16_64 0
		.amdhsa_float_denorm_mode_32 3
		.amdhsa_float_denorm_mode_16_64 3
		.amdhsa_dx10_clamp 1
		.amdhsa_ieee_mode 1
		.amdhsa_fp16_overflow 0
		.amdhsa_workgroup_processor_mode 1
		.amdhsa_memory_ordered 1
		.amdhsa_forward_progress 1
		.amdhsa_shared_vgpr_count 0
		.amdhsa_exception_fp_ieee_invalid_op 0
		.amdhsa_exception_fp_denorm_src 0
		.amdhsa_exception_fp_ieee_div_zero 0
		.amdhsa_exception_fp_ieee_overflow 0
		.amdhsa_exception_fp_ieee_underflow 0
		.amdhsa_exception_fp_ieee_inexact 0
		.amdhsa_exception_int_div_zero 0
	.end_amdhsa_kernel
	.section	.text._Z17warp_store_kernelILj256ELj4ELj32ELN6hipcub18WarpStoreAlgorithmE1EdEvPT3_,"axG",@progbits,_Z17warp_store_kernelILj256ELj4ELj32ELN6hipcub18WarpStoreAlgorithmE1EdEvPT3_,comdat
.Lfunc_end20:
	.size	_Z17warp_store_kernelILj256ELj4ELj32ELN6hipcub18WarpStoreAlgorithmE1EdEvPT3_, .Lfunc_end20-_Z17warp_store_kernelILj256ELj4ELj32ELN6hipcub18WarpStoreAlgorithmE1EdEvPT3_
                                        ; -- End function
	.set _Z17warp_store_kernelILj256ELj4ELj32ELN6hipcub18WarpStoreAlgorithmE1EdEvPT3_.num_vgpr, 11
	.set _Z17warp_store_kernelILj256ELj4ELj32ELN6hipcub18WarpStoreAlgorithmE1EdEvPT3_.num_agpr, 0
	.set _Z17warp_store_kernelILj256ELj4ELj32ELN6hipcub18WarpStoreAlgorithmE1EdEvPT3_.numbered_sgpr, 7
	.set _Z17warp_store_kernelILj256ELj4ELj32ELN6hipcub18WarpStoreAlgorithmE1EdEvPT3_.num_named_barrier, 0
	.set _Z17warp_store_kernelILj256ELj4ELj32ELN6hipcub18WarpStoreAlgorithmE1EdEvPT3_.private_seg_size, 0
	.set _Z17warp_store_kernelILj256ELj4ELj32ELN6hipcub18WarpStoreAlgorithmE1EdEvPT3_.uses_vcc, 1
	.set _Z17warp_store_kernelILj256ELj4ELj32ELN6hipcub18WarpStoreAlgorithmE1EdEvPT3_.uses_flat_scratch, 0
	.set _Z17warp_store_kernelILj256ELj4ELj32ELN6hipcub18WarpStoreAlgorithmE1EdEvPT3_.has_dyn_sized_stack, 0
	.set _Z17warp_store_kernelILj256ELj4ELj32ELN6hipcub18WarpStoreAlgorithmE1EdEvPT3_.has_recursion, 0
	.set _Z17warp_store_kernelILj256ELj4ELj32ELN6hipcub18WarpStoreAlgorithmE1EdEvPT3_.has_indirect_call, 0
	.section	.AMDGPU.csdata,"",@progbits
; Kernel info:
; codeLenInByte = 160
; TotalNumSgprs: 9
; NumVgprs: 11
; ScratchSize: 0
; MemoryBound: 0
; FloatMode: 240
; IeeeMode: 1
; LDSByteSize: 0 bytes/workgroup (compile time only)
; SGPRBlocks: 0
; VGPRBlocks: 1
; NumSGPRsForWavesPerEU: 9
; NumVGPRsForWavesPerEU: 11
; Occupancy: 16
; WaveLimiterHint : 1
; COMPUTE_PGM_RSRC2:SCRATCH_EN: 0
; COMPUTE_PGM_RSRC2:USER_SGPR: 6
; COMPUTE_PGM_RSRC2:TRAP_HANDLER: 0
; COMPUTE_PGM_RSRC2:TGID_X_EN: 1
; COMPUTE_PGM_RSRC2:TGID_Y_EN: 0
; COMPUTE_PGM_RSRC2:TGID_Z_EN: 0
; COMPUTE_PGM_RSRC2:TIDIG_COMP_CNT: 0
	.section	.text._Z17warp_store_kernelILj256ELj4ELj32ELN6hipcub18WarpStoreAlgorithmE2EdEvPT3_,"axG",@progbits,_Z17warp_store_kernelILj256ELj4ELj32ELN6hipcub18WarpStoreAlgorithmE2EdEvPT3_,comdat
	.protected	_Z17warp_store_kernelILj256ELj4ELj32ELN6hipcub18WarpStoreAlgorithmE2EdEvPT3_ ; -- Begin function _Z17warp_store_kernelILj256ELj4ELj32ELN6hipcub18WarpStoreAlgorithmE2EdEvPT3_
	.globl	_Z17warp_store_kernelILj256ELj4ELj32ELN6hipcub18WarpStoreAlgorithmE2EdEvPT3_
	.p2align	8
	.type	_Z17warp_store_kernelILj256ELj4ELj32ELN6hipcub18WarpStoreAlgorithmE2EdEvPT3_,@function
_Z17warp_store_kernelILj256ELj4ELj32ELN6hipcub18WarpStoreAlgorithmE2EdEvPT3_: ; @_Z17warp_store_kernelILj256ELj4ELj32ELN6hipcub18WarpStoreAlgorithmE2EdEvPT3_
; %bb.0:
	s_load_dwordx2 s[0:1], s[4:5], 0x0
	v_lshlrev_b32_e32 v0, 2, v0
	s_lshl_b32 s2, s6, 10
	v_mov_b32_e32 v1, 0
	v_mbcnt_lo_u32_b32 v2, -1, 0
	v_mov_b32_e32 v3, 0x3ff00000
	v_and_or_b32 v0, 0x380, v0, s2
	v_mov_b32_e32 v5, 2.0
	v_mov_b32_e32 v7, 0x40080000
	v_lshlrev_b32_e32 v6, 5, v2
	v_mov_b32_e32 v2, v1
	v_lshlrev_b64 v[8:9], 3, v[0:1]
	v_mov_b32_e32 v0, v1
	v_mov_b32_e32 v4, v1
	s_waitcnt lgkmcnt(0)
	v_add_co_u32 v8, vcc_lo, s0, v8
	v_add_co_ci_u32_e64 v9, null, s1, v9, vcc_lo
	v_add_co_u32 v8, vcc_lo, v8, v6
	v_add_co_ci_u32_e64 v9, null, 0, v9, vcc_lo
	v_mov_b32_e32 v6, v1
	global_store_dwordx4 v[8:9], v[0:3], off
	global_store_dwordx4 v[8:9], v[4:7], off offset:16
	s_endpgm
	.section	.rodata,"a",@progbits
	.p2align	6, 0x0
	.amdhsa_kernel _Z17warp_store_kernelILj256ELj4ELj32ELN6hipcub18WarpStoreAlgorithmE2EdEvPT3_
		.amdhsa_group_segment_fixed_size 0
		.amdhsa_private_segment_fixed_size 0
		.amdhsa_kernarg_size 8
		.amdhsa_user_sgpr_count 6
		.amdhsa_user_sgpr_private_segment_buffer 1
		.amdhsa_user_sgpr_dispatch_ptr 0
		.amdhsa_user_sgpr_queue_ptr 0
		.amdhsa_user_sgpr_kernarg_segment_ptr 1
		.amdhsa_user_sgpr_dispatch_id 0
		.amdhsa_user_sgpr_flat_scratch_init 0
		.amdhsa_user_sgpr_private_segment_size 0
		.amdhsa_wavefront_size32 1
		.amdhsa_uses_dynamic_stack 0
		.amdhsa_system_sgpr_private_segment_wavefront_offset 0
		.amdhsa_system_sgpr_workgroup_id_x 1
		.amdhsa_system_sgpr_workgroup_id_y 0
		.amdhsa_system_sgpr_workgroup_id_z 0
		.amdhsa_system_sgpr_workgroup_info 0
		.amdhsa_system_vgpr_workitem_id 0
		.amdhsa_next_free_vgpr 10
		.amdhsa_next_free_sgpr 7
		.amdhsa_reserve_vcc 1
		.amdhsa_reserve_flat_scratch 0
		.amdhsa_float_round_mode_32 0
		.amdhsa_float_round_mode_16_64 0
		.amdhsa_float_denorm_mode_32 3
		.amdhsa_float_denorm_mode_16_64 3
		.amdhsa_dx10_clamp 1
		.amdhsa_ieee_mode 1
		.amdhsa_fp16_overflow 0
		.amdhsa_workgroup_processor_mode 1
		.amdhsa_memory_ordered 1
		.amdhsa_forward_progress 1
		.amdhsa_shared_vgpr_count 0
		.amdhsa_exception_fp_ieee_invalid_op 0
		.amdhsa_exception_fp_denorm_src 0
		.amdhsa_exception_fp_ieee_div_zero 0
		.amdhsa_exception_fp_ieee_overflow 0
		.amdhsa_exception_fp_ieee_underflow 0
		.amdhsa_exception_fp_ieee_inexact 0
		.amdhsa_exception_int_div_zero 0
	.end_amdhsa_kernel
	.section	.text._Z17warp_store_kernelILj256ELj4ELj32ELN6hipcub18WarpStoreAlgorithmE2EdEvPT3_,"axG",@progbits,_Z17warp_store_kernelILj256ELj4ELj32ELN6hipcub18WarpStoreAlgorithmE2EdEvPT3_,comdat
.Lfunc_end21:
	.size	_Z17warp_store_kernelILj256ELj4ELj32ELN6hipcub18WarpStoreAlgorithmE2EdEvPT3_, .Lfunc_end21-_Z17warp_store_kernelILj256ELj4ELj32ELN6hipcub18WarpStoreAlgorithmE2EdEvPT3_
                                        ; -- End function
	.set _Z17warp_store_kernelILj256ELj4ELj32ELN6hipcub18WarpStoreAlgorithmE2EdEvPT3_.num_vgpr, 10
	.set _Z17warp_store_kernelILj256ELj4ELj32ELN6hipcub18WarpStoreAlgorithmE2EdEvPT3_.num_agpr, 0
	.set _Z17warp_store_kernelILj256ELj4ELj32ELN6hipcub18WarpStoreAlgorithmE2EdEvPT3_.numbered_sgpr, 7
	.set _Z17warp_store_kernelILj256ELj4ELj32ELN6hipcub18WarpStoreAlgorithmE2EdEvPT3_.num_named_barrier, 0
	.set _Z17warp_store_kernelILj256ELj4ELj32ELN6hipcub18WarpStoreAlgorithmE2EdEvPT3_.private_seg_size, 0
	.set _Z17warp_store_kernelILj256ELj4ELj32ELN6hipcub18WarpStoreAlgorithmE2EdEvPT3_.uses_vcc, 1
	.set _Z17warp_store_kernelILj256ELj4ELj32ELN6hipcub18WarpStoreAlgorithmE2EdEvPT3_.uses_flat_scratch, 0
	.set _Z17warp_store_kernelILj256ELj4ELj32ELN6hipcub18WarpStoreAlgorithmE2EdEvPT3_.has_dyn_sized_stack, 0
	.set _Z17warp_store_kernelILj256ELj4ELj32ELN6hipcub18WarpStoreAlgorithmE2EdEvPT3_.has_recursion, 0
	.set _Z17warp_store_kernelILj256ELj4ELj32ELN6hipcub18WarpStoreAlgorithmE2EdEvPT3_.has_indirect_call, 0
	.section	.AMDGPU.csdata,"",@progbits
; Kernel info:
; codeLenInByte = 144
; TotalNumSgprs: 9
; NumVgprs: 10
; ScratchSize: 0
; MemoryBound: 0
; FloatMode: 240
; IeeeMode: 1
; LDSByteSize: 0 bytes/workgroup (compile time only)
; SGPRBlocks: 0
; VGPRBlocks: 1
; NumSGPRsForWavesPerEU: 9
; NumVGPRsForWavesPerEU: 10
; Occupancy: 16
; WaveLimiterHint : 0
; COMPUTE_PGM_RSRC2:SCRATCH_EN: 0
; COMPUTE_PGM_RSRC2:USER_SGPR: 6
; COMPUTE_PGM_RSRC2:TRAP_HANDLER: 0
; COMPUTE_PGM_RSRC2:TGID_X_EN: 1
; COMPUTE_PGM_RSRC2:TGID_Y_EN: 0
; COMPUTE_PGM_RSRC2:TGID_Z_EN: 0
; COMPUTE_PGM_RSRC2:TIDIG_COMP_CNT: 0
	.section	.text._Z17warp_store_kernelILj256ELj4ELj32ELN6hipcub18WarpStoreAlgorithmE3EdEvPT3_,"axG",@progbits,_Z17warp_store_kernelILj256ELj4ELj32ELN6hipcub18WarpStoreAlgorithmE3EdEvPT3_,comdat
	.protected	_Z17warp_store_kernelILj256ELj4ELj32ELN6hipcub18WarpStoreAlgorithmE3EdEvPT3_ ; -- Begin function _Z17warp_store_kernelILj256ELj4ELj32ELN6hipcub18WarpStoreAlgorithmE3EdEvPT3_
	.globl	_Z17warp_store_kernelILj256ELj4ELj32ELN6hipcub18WarpStoreAlgorithmE3EdEvPT3_
	.p2align	8
	.type	_Z17warp_store_kernelILj256ELj4ELj32ELN6hipcub18WarpStoreAlgorithmE3EdEvPT3_,@function
_Z17warp_store_kernelILj256ELj4ELj32ELN6hipcub18WarpStoreAlgorithmE3EdEvPT3_: ; @_Z17warp_store_kernelILj256ELj4ELj32ELN6hipcub18WarpStoreAlgorithmE3EdEvPT3_
; %bb.0:
	v_mbcnt_lo_u32_b32 v10, -1, 0
	v_lshrrev_b32_e32 v4, 5, v0
	s_lshl_b32 s0, s6, 10
	v_mov_b32_e32 v1, 0
	v_mov_b32_e32 v3, 0x3ff00000
	v_lshlrev_b32_e32 v6, 5, v10
	v_lshl_or_b32 v0, v4, 7, s0
	s_load_dwordx2 s[0:1], s[4:5], 0x0
	v_mov_b32_e32 v2, v1
	v_mov_b32_e32 v5, 2.0
	v_lshl_or_b32 v11, v4, 10, v6
	v_lshlrev_b64 v[8:9], 3, v[0:1]
	v_mov_b32_e32 v0, v1
	v_mov_b32_e32 v7, 0x40080000
	;; [unrolled: 1-line block ×3, first 2 shown]
	v_mad_i32_i24 v12, 0xffffffe8, v10, v11
	v_mov_b32_e32 v6, v1
	ds_write_b128 v11, v[0:3]
	ds_write_b128 v11, v[4:7] offset:16
	; wave barrier
	ds_read2_b64 v[0:3], v12 offset1:32
	ds_read2_b64 v[4:7], v12 offset0:64 offset1:96
	v_lshlrev_b32_e32 v10, 3, v10
	s_waitcnt lgkmcnt(0)
	v_add_co_u32 v8, vcc_lo, s0, v8
	v_add_co_ci_u32_e64 v9, null, s1, v9, vcc_lo
	v_add_co_u32 v8, vcc_lo, v8, v10
	v_add_co_ci_u32_e64 v9, null, 0, v9, vcc_lo
	global_store_dwordx2 v[8:9], v[0:1], off
	global_store_dwordx2 v[8:9], v[2:3], off offset:256
	global_store_dwordx2 v[8:9], v[4:5], off offset:512
	;; [unrolled: 1-line block ×3, first 2 shown]
	s_endpgm
	.section	.rodata,"a",@progbits
	.p2align	6, 0x0
	.amdhsa_kernel _Z17warp_store_kernelILj256ELj4ELj32ELN6hipcub18WarpStoreAlgorithmE3EdEvPT3_
		.amdhsa_group_segment_fixed_size 8192
		.amdhsa_private_segment_fixed_size 0
		.amdhsa_kernarg_size 8
		.amdhsa_user_sgpr_count 6
		.amdhsa_user_sgpr_private_segment_buffer 1
		.amdhsa_user_sgpr_dispatch_ptr 0
		.amdhsa_user_sgpr_queue_ptr 0
		.amdhsa_user_sgpr_kernarg_segment_ptr 1
		.amdhsa_user_sgpr_dispatch_id 0
		.amdhsa_user_sgpr_flat_scratch_init 0
		.amdhsa_user_sgpr_private_segment_size 0
		.amdhsa_wavefront_size32 1
		.amdhsa_uses_dynamic_stack 0
		.amdhsa_system_sgpr_private_segment_wavefront_offset 0
		.amdhsa_system_sgpr_workgroup_id_x 1
		.amdhsa_system_sgpr_workgroup_id_y 0
		.amdhsa_system_sgpr_workgroup_id_z 0
		.amdhsa_system_sgpr_workgroup_info 0
		.amdhsa_system_vgpr_workitem_id 0
		.amdhsa_next_free_vgpr 13
		.amdhsa_next_free_sgpr 7
		.amdhsa_reserve_vcc 1
		.amdhsa_reserve_flat_scratch 0
		.amdhsa_float_round_mode_32 0
		.amdhsa_float_round_mode_16_64 0
		.amdhsa_float_denorm_mode_32 3
		.amdhsa_float_denorm_mode_16_64 3
		.amdhsa_dx10_clamp 1
		.amdhsa_ieee_mode 1
		.amdhsa_fp16_overflow 0
		.amdhsa_workgroup_processor_mode 1
		.amdhsa_memory_ordered 1
		.amdhsa_forward_progress 1
		.amdhsa_shared_vgpr_count 0
		.amdhsa_exception_fp_ieee_invalid_op 0
		.amdhsa_exception_fp_denorm_src 0
		.amdhsa_exception_fp_ieee_div_zero 0
		.amdhsa_exception_fp_ieee_overflow 0
		.amdhsa_exception_fp_ieee_underflow 0
		.amdhsa_exception_fp_ieee_inexact 0
		.amdhsa_exception_int_div_zero 0
	.end_amdhsa_kernel
	.section	.text._Z17warp_store_kernelILj256ELj4ELj32ELN6hipcub18WarpStoreAlgorithmE3EdEvPT3_,"axG",@progbits,_Z17warp_store_kernelILj256ELj4ELj32ELN6hipcub18WarpStoreAlgorithmE3EdEvPT3_,comdat
.Lfunc_end22:
	.size	_Z17warp_store_kernelILj256ELj4ELj32ELN6hipcub18WarpStoreAlgorithmE3EdEvPT3_, .Lfunc_end22-_Z17warp_store_kernelILj256ELj4ELj32ELN6hipcub18WarpStoreAlgorithmE3EdEvPT3_
                                        ; -- End function
	.set _Z17warp_store_kernelILj256ELj4ELj32ELN6hipcub18WarpStoreAlgorithmE3EdEvPT3_.num_vgpr, 13
	.set _Z17warp_store_kernelILj256ELj4ELj32ELN6hipcub18WarpStoreAlgorithmE3EdEvPT3_.num_agpr, 0
	.set _Z17warp_store_kernelILj256ELj4ELj32ELN6hipcub18WarpStoreAlgorithmE3EdEvPT3_.numbered_sgpr, 7
	.set _Z17warp_store_kernelILj256ELj4ELj32ELN6hipcub18WarpStoreAlgorithmE3EdEvPT3_.num_named_barrier, 0
	.set _Z17warp_store_kernelILj256ELj4ELj32ELN6hipcub18WarpStoreAlgorithmE3EdEvPT3_.private_seg_size, 0
	.set _Z17warp_store_kernelILj256ELj4ELj32ELN6hipcub18WarpStoreAlgorithmE3EdEvPT3_.uses_vcc, 1
	.set _Z17warp_store_kernelILj256ELj4ELj32ELN6hipcub18WarpStoreAlgorithmE3EdEvPT3_.uses_flat_scratch, 0
	.set _Z17warp_store_kernelILj256ELj4ELj32ELN6hipcub18WarpStoreAlgorithmE3EdEvPT3_.has_dyn_sized_stack, 0
	.set _Z17warp_store_kernelILj256ELj4ELj32ELN6hipcub18WarpStoreAlgorithmE3EdEvPT3_.has_recursion, 0
	.set _Z17warp_store_kernelILj256ELj4ELj32ELN6hipcub18WarpStoreAlgorithmE3EdEvPT3_.has_indirect_call, 0
	.section	.AMDGPU.csdata,"",@progbits
; Kernel info:
; codeLenInByte = 212
; TotalNumSgprs: 9
; NumVgprs: 13
; ScratchSize: 0
; MemoryBound: 1
; FloatMode: 240
; IeeeMode: 1
; LDSByteSize: 8192 bytes/workgroup (compile time only)
; SGPRBlocks: 0
; VGPRBlocks: 1
; NumSGPRsForWavesPerEU: 9
; NumVGPRsForWavesPerEU: 13
; Occupancy: 16
; WaveLimiterHint : 1
; COMPUTE_PGM_RSRC2:SCRATCH_EN: 0
; COMPUTE_PGM_RSRC2:USER_SGPR: 6
; COMPUTE_PGM_RSRC2:TRAP_HANDLER: 0
; COMPUTE_PGM_RSRC2:TGID_X_EN: 1
; COMPUTE_PGM_RSRC2:TGID_Y_EN: 0
; COMPUTE_PGM_RSRC2:TGID_Z_EN: 0
; COMPUTE_PGM_RSRC2:TIDIG_COMP_CNT: 0
	.section	.text._Z17warp_store_kernelILj256ELj8ELj32ELN6hipcub18WarpStoreAlgorithmE0EdEvPT3_,"axG",@progbits,_Z17warp_store_kernelILj256ELj8ELj32ELN6hipcub18WarpStoreAlgorithmE0EdEvPT3_,comdat
	.protected	_Z17warp_store_kernelILj256ELj8ELj32ELN6hipcub18WarpStoreAlgorithmE0EdEvPT3_ ; -- Begin function _Z17warp_store_kernelILj256ELj8ELj32ELN6hipcub18WarpStoreAlgorithmE0EdEvPT3_
	.globl	_Z17warp_store_kernelILj256ELj8ELj32ELN6hipcub18WarpStoreAlgorithmE0EdEvPT3_
	.p2align	8
	.type	_Z17warp_store_kernelILj256ELj8ELj32ELN6hipcub18WarpStoreAlgorithmE0EdEvPT3_,@function
_Z17warp_store_kernelILj256ELj8ELj32ELN6hipcub18WarpStoreAlgorithmE0EdEvPT3_: ; @_Z17warp_store_kernelILj256ELj8ELj32ELN6hipcub18WarpStoreAlgorithmE0EdEvPT3_
; %bb.0:
	s_load_dwordx2 s[0:1], s[4:5], 0x0
	v_lshlrev_b32_e32 v0, 3, v0
	s_lshl_b32 s2, s6, 11
	v_mov_b32_e32 v1, 0
	v_mbcnt_lo_u32_b32 v2, -1, 0
	v_mov_b32_e32 v3, 0x3ff00000
	v_and_or_b32 v0, 0x700, v0, s2
	v_mov_b32_e32 v5, 2.0
	v_mov_b32_e32 v7, 0x40080000
	v_lshlrev_b32_e32 v8, 6, v2
	v_mov_b32_e32 v2, v1
	v_lshlrev_b64 v[12:13], 3, v[0:1]
	v_mov_b32_e32 v0, v1
	v_mov_b32_e32 v4, v1
	;; [unrolled: 1-line block ×7, first 2 shown]
	s_waitcnt lgkmcnt(0)
	v_add_co_u32 v10, vcc_lo, s0, v12
	v_add_co_ci_u32_e64 v12, null, s1, v13, vcc_lo
	v_mov_b32_e32 v13, 0x40180000
	v_add_co_u32 v16, vcc_lo, v10, v8
	v_add_co_ci_u32_e64 v17, null, 0, v12, vcc_lo
	v_mov_b32_e32 v8, v1
	v_mov_b32_e32 v10, v1
	;; [unrolled: 1-line block ×3, first 2 shown]
	global_store_dwordx4 v[16:17], v[0:3], off
	global_store_dwordx4 v[16:17], v[4:7], off offset:16
	global_store_dwordx4 v[16:17], v[8:11], off offset:32
	;; [unrolled: 1-line block ×3, first 2 shown]
	s_endpgm
	.section	.rodata,"a",@progbits
	.p2align	6, 0x0
	.amdhsa_kernel _Z17warp_store_kernelILj256ELj8ELj32ELN6hipcub18WarpStoreAlgorithmE0EdEvPT3_
		.amdhsa_group_segment_fixed_size 0
		.amdhsa_private_segment_fixed_size 0
		.amdhsa_kernarg_size 8
		.amdhsa_user_sgpr_count 6
		.amdhsa_user_sgpr_private_segment_buffer 1
		.amdhsa_user_sgpr_dispatch_ptr 0
		.amdhsa_user_sgpr_queue_ptr 0
		.amdhsa_user_sgpr_kernarg_segment_ptr 1
		.amdhsa_user_sgpr_dispatch_id 0
		.amdhsa_user_sgpr_flat_scratch_init 0
		.amdhsa_user_sgpr_private_segment_size 0
		.amdhsa_wavefront_size32 1
		.amdhsa_uses_dynamic_stack 0
		.amdhsa_system_sgpr_private_segment_wavefront_offset 0
		.amdhsa_system_sgpr_workgroup_id_x 1
		.amdhsa_system_sgpr_workgroup_id_y 0
		.amdhsa_system_sgpr_workgroup_id_z 0
		.amdhsa_system_sgpr_workgroup_info 0
		.amdhsa_system_vgpr_workitem_id 0
		.amdhsa_next_free_vgpr 18
		.amdhsa_next_free_sgpr 7
		.amdhsa_reserve_vcc 1
		.amdhsa_reserve_flat_scratch 0
		.amdhsa_float_round_mode_32 0
		.amdhsa_float_round_mode_16_64 0
		.amdhsa_float_denorm_mode_32 3
		.amdhsa_float_denorm_mode_16_64 3
		.amdhsa_dx10_clamp 1
		.amdhsa_ieee_mode 1
		.amdhsa_fp16_overflow 0
		.amdhsa_workgroup_processor_mode 1
		.amdhsa_memory_ordered 1
		.amdhsa_forward_progress 1
		.amdhsa_shared_vgpr_count 0
		.amdhsa_exception_fp_ieee_invalid_op 0
		.amdhsa_exception_fp_denorm_src 0
		.amdhsa_exception_fp_ieee_div_zero 0
		.amdhsa_exception_fp_ieee_overflow 0
		.amdhsa_exception_fp_ieee_underflow 0
		.amdhsa_exception_fp_ieee_inexact 0
		.amdhsa_exception_int_div_zero 0
	.end_amdhsa_kernel
	.section	.text._Z17warp_store_kernelILj256ELj8ELj32ELN6hipcub18WarpStoreAlgorithmE0EdEvPT3_,"axG",@progbits,_Z17warp_store_kernelILj256ELj8ELj32ELN6hipcub18WarpStoreAlgorithmE0EdEvPT3_,comdat
.Lfunc_end23:
	.size	_Z17warp_store_kernelILj256ELj8ELj32ELN6hipcub18WarpStoreAlgorithmE0EdEvPT3_, .Lfunc_end23-_Z17warp_store_kernelILj256ELj8ELj32ELN6hipcub18WarpStoreAlgorithmE0EdEvPT3_
                                        ; -- End function
	.set _Z17warp_store_kernelILj256ELj8ELj32ELN6hipcub18WarpStoreAlgorithmE0EdEvPT3_.num_vgpr, 18
	.set _Z17warp_store_kernelILj256ELj8ELj32ELN6hipcub18WarpStoreAlgorithmE0EdEvPT3_.num_agpr, 0
	.set _Z17warp_store_kernelILj256ELj8ELj32ELN6hipcub18WarpStoreAlgorithmE0EdEvPT3_.numbered_sgpr, 7
	.set _Z17warp_store_kernelILj256ELj8ELj32ELN6hipcub18WarpStoreAlgorithmE0EdEvPT3_.num_named_barrier, 0
	.set _Z17warp_store_kernelILj256ELj8ELj32ELN6hipcub18WarpStoreAlgorithmE0EdEvPT3_.private_seg_size, 0
	.set _Z17warp_store_kernelILj256ELj8ELj32ELN6hipcub18WarpStoreAlgorithmE0EdEvPT3_.uses_vcc, 1
	.set _Z17warp_store_kernelILj256ELj8ELj32ELN6hipcub18WarpStoreAlgorithmE0EdEvPT3_.uses_flat_scratch, 0
	.set _Z17warp_store_kernelILj256ELj8ELj32ELN6hipcub18WarpStoreAlgorithmE0EdEvPT3_.has_dyn_sized_stack, 0
	.set _Z17warp_store_kernelILj256ELj8ELj32ELN6hipcub18WarpStoreAlgorithmE0EdEvPT3_.has_recursion, 0
	.set _Z17warp_store_kernelILj256ELj8ELj32ELN6hipcub18WarpStoreAlgorithmE0EdEvPT3_.has_indirect_call, 0
	.section	.AMDGPU.csdata,"",@progbits
; Kernel info:
; codeLenInByte = 208
; TotalNumSgprs: 9
; NumVgprs: 18
; ScratchSize: 0
; MemoryBound: 1
; FloatMode: 240
; IeeeMode: 1
; LDSByteSize: 0 bytes/workgroup (compile time only)
; SGPRBlocks: 0
; VGPRBlocks: 2
; NumSGPRsForWavesPerEU: 9
; NumVGPRsForWavesPerEU: 18
; Occupancy: 16
; WaveLimiterHint : 1
; COMPUTE_PGM_RSRC2:SCRATCH_EN: 0
; COMPUTE_PGM_RSRC2:USER_SGPR: 6
; COMPUTE_PGM_RSRC2:TRAP_HANDLER: 0
; COMPUTE_PGM_RSRC2:TGID_X_EN: 1
; COMPUTE_PGM_RSRC2:TGID_Y_EN: 0
; COMPUTE_PGM_RSRC2:TGID_Z_EN: 0
; COMPUTE_PGM_RSRC2:TIDIG_COMP_CNT: 0
	.section	.text._Z17warp_store_kernelILj256ELj8ELj32ELN6hipcub18WarpStoreAlgorithmE1EdEvPT3_,"axG",@progbits,_Z17warp_store_kernelILj256ELj8ELj32ELN6hipcub18WarpStoreAlgorithmE1EdEvPT3_,comdat
	.protected	_Z17warp_store_kernelILj256ELj8ELj32ELN6hipcub18WarpStoreAlgorithmE1EdEvPT3_ ; -- Begin function _Z17warp_store_kernelILj256ELj8ELj32ELN6hipcub18WarpStoreAlgorithmE1EdEvPT3_
	.globl	_Z17warp_store_kernelILj256ELj8ELj32ELN6hipcub18WarpStoreAlgorithmE1EdEvPT3_
	.p2align	8
	.type	_Z17warp_store_kernelILj256ELj8ELj32ELN6hipcub18WarpStoreAlgorithmE1EdEvPT3_,@function
_Z17warp_store_kernelILj256ELj8ELj32ELN6hipcub18WarpStoreAlgorithmE1EdEvPT3_: ; @_Z17warp_store_kernelILj256ELj8ELj32ELN6hipcub18WarpStoreAlgorithmE1EdEvPT3_
; %bb.0:
	s_load_dwordx2 s[0:1], s[4:5], 0x0
	v_lshlrev_b32_e32 v0, 3, v0
	s_lshl_b32 s2, s6, 11
	v_mov_b32_e32 v1, 0
	v_mbcnt_lo_u32_b32 v2, -1, 0
	v_mov_b32_e32 v3, 0x3ff00000
	v_and_or_b32 v0, 0x700, v0, s2
	v_mov_b32_e32 v5, 2.0
	v_mov_b32_e32 v7, 0x40080000
	v_lshlrev_b32_e32 v4, 3, v2
	v_mov_b32_e32 v2, v1
	v_lshlrev_b64 v[8:9], 3, v[0:1]
	v_mov_b32_e32 v0, v1
	v_mov_b32_e32 v10, 0x40100000
	;; [unrolled: 1-line block ×4, first 2 shown]
	s_waitcnt lgkmcnt(0)
	v_add_co_u32 v6, vcc_lo, s0, v8
	v_add_co_ci_u32_e64 v8, null, s1, v9, vcc_lo
	v_mov_b32_e32 v9, v1
	v_add_co_u32 v13, vcc_lo, v6, v4
	v_add_co_ci_u32_e64 v14, null, 0, v8, vcc_lo
	v_mov_b32_e32 v4, v1
	v_mov_b32_e32 v6, v1
	global_store_dwordx2 v[13:14], v[0:1], off
	global_store_dwordx2 v[13:14], v[2:3], off offset:256
	global_store_dwordx2 v[13:14], v[4:5], off offset:512
	v_mov_b32_e32 v3, 0x40180000
	v_mov_b32_e32 v5, 0x401c0000
	global_store_dwordx2 v[13:14], v[6:7], off offset:768
	global_store_dwordx2 v[13:14], v[9:10], off offset:1024
	;; [unrolled: 1-line block ×5, first 2 shown]
	s_endpgm
	.section	.rodata,"a",@progbits
	.p2align	6, 0x0
	.amdhsa_kernel _Z17warp_store_kernelILj256ELj8ELj32ELN6hipcub18WarpStoreAlgorithmE1EdEvPT3_
		.amdhsa_group_segment_fixed_size 0
		.amdhsa_private_segment_fixed_size 0
		.amdhsa_kernarg_size 8
		.amdhsa_user_sgpr_count 6
		.amdhsa_user_sgpr_private_segment_buffer 1
		.amdhsa_user_sgpr_dispatch_ptr 0
		.amdhsa_user_sgpr_queue_ptr 0
		.amdhsa_user_sgpr_kernarg_segment_ptr 1
		.amdhsa_user_sgpr_dispatch_id 0
		.amdhsa_user_sgpr_flat_scratch_init 0
		.amdhsa_user_sgpr_private_segment_size 0
		.amdhsa_wavefront_size32 1
		.amdhsa_uses_dynamic_stack 0
		.amdhsa_system_sgpr_private_segment_wavefront_offset 0
		.amdhsa_system_sgpr_workgroup_id_x 1
		.amdhsa_system_sgpr_workgroup_id_y 0
		.amdhsa_system_sgpr_workgroup_id_z 0
		.amdhsa_system_sgpr_workgroup_info 0
		.amdhsa_system_vgpr_workitem_id 0
		.amdhsa_next_free_vgpr 15
		.amdhsa_next_free_sgpr 7
		.amdhsa_reserve_vcc 1
		.amdhsa_reserve_flat_scratch 0
		.amdhsa_float_round_mode_32 0
		.amdhsa_float_round_mode_16_64 0
		.amdhsa_float_denorm_mode_32 3
		.amdhsa_float_denorm_mode_16_64 3
		.amdhsa_dx10_clamp 1
		.amdhsa_ieee_mode 1
		.amdhsa_fp16_overflow 0
		.amdhsa_workgroup_processor_mode 1
		.amdhsa_memory_ordered 1
		.amdhsa_forward_progress 1
		.amdhsa_shared_vgpr_count 0
		.amdhsa_exception_fp_ieee_invalid_op 0
		.amdhsa_exception_fp_denorm_src 0
		.amdhsa_exception_fp_ieee_div_zero 0
		.amdhsa_exception_fp_ieee_overflow 0
		.amdhsa_exception_fp_ieee_underflow 0
		.amdhsa_exception_fp_ieee_inexact 0
		.amdhsa_exception_int_div_zero 0
	.end_amdhsa_kernel
	.section	.text._Z17warp_store_kernelILj256ELj8ELj32ELN6hipcub18WarpStoreAlgorithmE1EdEvPT3_,"axG",@progbits,_Z17warp_store_kernelILj256ELj8ELj32ELN6hipcub18WarpStoreAlgorithmE1EdEvPT3_,comdat
.Lfunc_end24:
	.size	_Z17warp_store_kernelILj256ELj8ELj32ELN6hipcub18WarpStoreAlgorithmE1EdEvPT3_, .Lfunc_end24-_Z17warp_store_kernelILj256ELj8ELj32ELN6hipcub18WarpStoreAlgorithmE1EdEvPT3_
                                        ; -- End function
	.set _Z17warp_store_kernelILj256ELj8ELj32ELN6hipcub18WarpStoreAlgorithmE1EdEvPT3_.num_vgpr, 15
	.set _Z17warp_store_kernelILj256ELj8ELj32ELN6hipcub18WarpStoreAlgorithmE1EdEvPT3_.num_agpr, 0
	.set _Z17warp_store_kernelILj256ELj8ELj32ELN6hipcub18WarpStoreAlgorithmE1EdEvPT3_.numbered_sgpr, 7
	.set _Z17warp_store_kernelILj256ELj8ELj32ELN6hipcub18WarpStoreAlgorithmE1EdEvPT3_.num_named_barrier, 0
	.set _Z17warp_store_kernelILj256ELj8ELj32ELN6hipcub18WarpStoreAlgorithmE1EdEvPT3_.private_seg_size, 0
	.set _Z17warp_store_kernelILj256ELj8ELj32ELN6hipcub18WarpStoreAlgorithmE1EdEvPT3_.uses_vcc, 1
	.set _Z17warp_store_kernelILj256ELj8ELj32ELN6hipcub18WarpStoreAlgorithmE1EdEvPT3_.uses_flat_scratch, 0
	.set _Z17warp_store_kernelILj256ELj8ELj32ELN6hipcub18WarpStoreAlgorithmE1EdEvPT3_.has_dyn_sized_stack, 0
	.set _Z17warp_store_kernelILj256ELj8ELj32ELN6hipcub18WarpStoreAlgorithmE1EdEvPT3_.has_recursion, 0
	.set _Z17warp_store_kernelILj256ELj8ELj32ELN6hipcub18WarpStoreAlgorithmE1EdEvPT3_.has_indirect_call, 0
	.section	.AMDGPU.csdata,"",@progbits
; Kernel info:
; codeLenInByte = 232
; TotalNumSgprs: 9
; NumVgprs: 15
; ScratchSize: 0
; MemoryBound: 1
; FloatMode: 240
; IeeeMode: 1
; LDSByteSize: 0 bytes/workgroup (compile time only)
; SGPRBlocks: 0
; VGPRBlocks: 1
; NumSGPRsForWavesPerEU: 9
; NumVGPRsForWavesPerEU: 15
; Occupancy: 16
; WaveLimiterHint : 1
; COMPUTE_PGM_RSRC2:SCRATCH_EN: 0
; COMPUTE_PGM_RSRC2:USER_SGPR: 6
; COMPUTE_PGM_RSRC2:TRAP_HANDLER: 0
; COMPUTE_PGM_RSRC2:TGID_X_EN: 1
; COMPUTE_PGM_RSRC2:TGID_Y_EN: 0
; COMPUTE_PGM_RSRC2:TGID_Z_EN: 0
; COMPUTE_PGM_RSRC2:TIDIG_COMP_CNT: 0
	.section	.text._Z17warp_store_kernelILj256ELj8ELj32ELN6hipcub18WarpStoreAlgorithmE2EdEvPT3_,"axG",@progbits,_Z17warp_store_kernelILj256ELj8ELj32ELN6hipcub18WarpStoreAlgorithmE2EdEvPT3_,comdat
	.protected	_Z17warp_store_kernelILj256ELj8ELj32ELN6hipcub18WarpStoreAlgorithmE2EdEvPT3_ ; -- Begin function _Z17warp_store_kernelILj256ELj8ELj32ELN6hipcub18WarpStoreAlgorithmE2EdEvPT3_
	.globl	_Z17warp_store_kernelILj256ELj8ELj32ELN6hipcub18WarpStoreAlgorithmE2EdEvPT3_
	.p2align	8
	.type	_Z17warp_store_kernelILj256ELj8ELj32ELN6hipcub18WarpStoreAlgorithmE2EdEvPT3_,@function
_Z17warp_store_kernelILj256ELj8ELj32ELN6hipcub18WarpStoreAlgorithmE2EdEvPT3_: ; @_Z17warp_store_kernelILj256ELj8ELj32ELN6hipcub18WarpStoreAlgorithmE2EdEvPT3_
; %bb.0:
	s_load_dwordx2 s[0:1], s[4:5], 0x0
	v_lshlrev_b32_e32 v0, 3, v0
	s_lshl_b32 s2, s6, 11
	v_mov_b32_e32 v1, 0
	v_mbcnt_lo_u32_b32 v2, -1, 0
	v_mov_b32_e32 v3, 0x3ff00000
	v_and_or_b32 v0, 0x700, v0, s2
	v_mov_b32_e32 v5, 2.0
	v_mov_b32_e32 v7, 0x40080000
	v_lshlrev_b32_e32 v8, 6, v2
	v_mov_b32_e32 v2, v1
	v_lshlrev_b64 v[12:13], 3, v[0:1]
	v_mov_b32_e32 v0, v1
	v_mov_b32_e32 v4, v1
	;; [unrolled: 1-line block ×7, first 2 shown]
	s_waitcnt lgkmcnt(0)
	v_add_co_u32 v10, vcc_lo, s0, v12
	v_add_co_ci_u32_e64 v12, null, s1, v13, vcc_lo
	v_mov_b32_e32 v13, 0x40180000
	v_add_co_u32 v16, vcc_lo, v10, v8
	v_add_co_ci_u32_e64 v17, null, 0, v12, vcc_lo
	v_mov_b32_e32 v8, v1
	v_mov_b32_e32 v10, v1
	;; [unrolled: 1-line block ×3, first 2 shown]
	global_store_dwordx4 v[16:17], v[0:3], off
	global_store_dwordx4 v[16:17], v[4:7], off offset:16
	global_store_dwordx4 v[16:17], v[8:11], off offset:32
	;; [unrolled: 1-line block ×3, first 2 shown]
	s_endpgm
	.section	.rodata,"a",@progbits
	.p2align	6, 0x0
	.amdhsa_kernel _Z17warp_store_kernelILj256ELj8ELj32ELN6hipcub18WarpStoreAlgorithmE2EdEvPT3_
		.amdhsa_group_segment_fixed_size 0
		.amdhsa_private_segment_fixed_size 0
		.amdhsa_kernarg_size 8
		.amdhsa_user_sgpr_count 6
		.amdhsa_user_sgpr_private_segment_buffer 1
		.amdhsa_user_sgpr_dispatch_ptr 0
		.amdhsa_user_sgpr_queue_ptr 0
		.amdhsa_user_sgpr_kernarg_segment_ptr 1
		.amdhsa_user_sgpr_dispatch_id 0
		.amdhsa_user_sgpr_flat_scratch_init 0
		.amdhsa_user_sgpr_private_segment_size 0
		.amdhsa_wavefront_size32 1
		.amdhsa_uses_dynamic_stack 0
		.amdhsa_system_sgpr_private_segment_wavefront_offset 0
		.amdhsa_system_sgpr_workgroup_id_x 1
		.amdhsa_system_sgpr_workgroup_id_y 0
		.amdhsa_system_sgpr_workgroup_id_z 0
		.amdhsa_system_sgpr_workgroup_info 0
		.amdhsa_system_vgpr_workitem_id 0
		.amdhsa_next_free_vgpr 18
		.amdhsa_next_free_sgpr 7
		.amdhsa_reserve_vcc 1
		.amdhsa_reserve_flat_scratch 0
		.amdhsa_float_round_mode_32 0
		.amdhsa_float_round_mode_16_64 0
		.amdhsa_float_denorm_mode_32 3
		.amdhsa_float_denorm_mode_16_64 3
		.amdhsa_dx10_clamp 1
		.amdhsa_ieee_mode 1
		.amdhsa_fp16_overflow 0
		.amdhsa_workgroup_processor_mode 1
		.amdhsa_memory_ordered 1
		.amdhsa_forward_progress 1
		.amdhsa_shared_vgpr_count 0
		.amdhsa_exception_fp_ieee_invalid_op 0
		.amdhsa_exception_fp_denorm_src 0
		.amdhsa_exception_fp_ieee_div_zero 0
		.amdhsa_exception_fp_ieee_overflow 0
		.amdhsa_exception_fp_ieee_underflow 0
		.amdhsa_exception_fp_ieee_inexact 0
		.amdhsa_exception_int_div_zero 0
	.end_amdhsa_kernel
	.section	.text._Z17warp_store_kernelILj256ELj8ELj32ELN6hipcub18WarpStoreAlgorithmE2EdEvPT3_,"axG",@progbits,_Z17warp_store_kernelILj256ELj8ELj32ELN6hipcub18WarpStoreAlgorithmE2EdEvPT3_,comdat
.Lfunc_end25:
	.size	_Z17warp_store_kernelILj256ELj8ELj32ELN6hipcub18WarpStoreAlgorithmE2EdEvPT3_, .Lfunc_end25-_Z17warp_store_kernelILj256ELj8ELj32ELN6hipcub18WarpStoreAlgorithmE2EdEvPT3_
                                        ; -- End function
	.set _Z17warp_store_kernelILj256ELj8ELj32ELN6hipcub18WarpStoreAlgorithmE2EdEvPT3_.num_vgpr, 18
	.set _Z17warp_store_kernelILj256ELj8ELj32ELN6hipcub18WarpStoreAlgorithmE2EdEvPT3_.num_agpr, 0
	.set _Z17warp_store_kernelILj256ELj8ELj32ELN6hipcub18WarpStoreAlgorithmE2EdEvPT3_.numbered_sgpr, 7
	.set _Z17warp_store_kernelILj256ELj8ELj32ELN6hipcub18WarpStoreAlgorithmE2EdEvPT3_.num_named_barrier, 0
	.set _Z17warp_store_kernelILj256ELj8ELj32ELN6hipcub18WarpStoreAlgorithmE2EdEvPT3_.private_seg_size, 0
	.set _Z17warp_store_kernelILj256ELj8ELj32ELN6hipcub18WarpStoreAlgorithmE2EdEvPT3_.uses_vcc, 1
	.set _Z17warp_store_kernelILj256ELj8ELj32ELN6hipcub18WarpStoreAlgorithmE2EdEvPT3_.uses_flat_scratch, 0
	.set _Z17warp_store_kernelILj256ELj8ELj32ELN6hipcub18WarpStoreAlgorithmE2EdEvPT3_.has_dyn_sized_stack, 0
	.set _Z17warp_store_kernelILj256ELj8ELj32ELN6hipcub18WarpStoreAlgorithmE2EdEvPT3_.has_recursion, 0
	.set _Z17warp_store_kernelILj256ELj8ELj32ELN6hipcub18WarpStoreAlgorithmE2EdEvPT3_.has_indirect_call, 0
	.section	.AMDGPU.csdata,"",@progbits
; Kernel info:
; codeLenInByte = 208
; TotalNumSgprs: 9
; NumVgprs: 18
; ScratchSize: 0
; MemoryBound: 1
; FloatMode: 240
; IeeeMode: 1
; LDSByteSize: 0 bytes/workgroup (compile time only)
; SGPRBlocks: 0
; VGPRBlocks: 2
; NumSGPRsForWavesPerEU: 9
; NumVGPRsForWavesPerEU: 18
; Occupancy: 16
; WaveLimiterHint : 1
; COMPUTE_PGM_RSRC2:SCRATCH_EN: 0
; COMPUTE_PGM_RSRC2:USER_SGPR: 6
; COMPUTE_PGM_RSRC2:TRAP_HANDLER: 0
; COMPUTE_PGM_RSRC2:TGID_X_EN: 1
; COMPUTE_PGM_RSRC2:TGID_Y_EN: 0
; COMPUTE_PGM_RSRC2:TGID_Z_EN: 0
; COMPUTE_PGM_RSRC2:TIDIG_COMP_CNT: 0
	.section	.text._Z17warp_store_kernelILj256ELj8ELj32ELN6hipcub18WarpStoreAlgorithmE3EdEvPT3_,"axG",@progbits,_Z17warp_store_kernelILj256ELj8ELj32ELN6hipcub18WarpStoreAlgorithmE3EdEvPT3_,comdat
	.protected	_Z17warp_store_kernelILj256ELj8ELj32ELN6hipcub18WarpStoreAlgorithmE3EdEvPT3_ ; -- Begin function _Z17warp_store_kernelILj256ELj8ELj32ELN6hipcub18WarpStoreAlgorithmE3EdEvPT3_
	.globl	_Z17warp_store_kernelILj256ELj8ELj32ELN6hipcub18WarpStoreAlgorithmE3EdEvPT3_
	.p2align	8
	.type	_Z17warp_store_kernelILj256ELj8ELj32ELN6hipcub18WarpStoreAlgorithmE3EdEvPT3_,@function
_Z17warp_store_kernelILj256ELj8ELj32ELN6hipcub18WarpStoreAlgorithmE3EdEvPT3_: ; @_Z17warp_store_kernelILj256ELj8ELj32ELN6hipcub18WarpStoreAlgorithmE3EdEvPT3_
; %bb.0:
	v_mbcnt_lo_u32_b32 v18, -1, 0
	v_lshrrev_b32_e32 v4, 5, v0
	s_lshl_b32 s0, s6, 11
	v_mov_b32_e32 v1, 0
	v_mov_b32_e32 v3, 0x3ff00000
	v_lshlrev_b32_e32 v6, 6, v18
	v_lshl_or_b32 v0, v4, 8, s0
	s_load_dwordx2 s[0:1], s[4:5], 0x0
	v_mov_b32_e32 v2, v1
	v_mov_b32_e32 v9, 0x40100000
	v_lshl_or_b32 v19, v4, 11, v6
	v_lshlrev_b64 v[16:17], 3, v[0:1]
	v_mov_b32_e32 v0, v1
	v_mov_b32_e32 v11, 0x40140000
	;; [unrolled: 1-line block ×4, first 2 shown]
	v_mad_i32_i24 v20, 0xffffffc8, v18, v19
	v_mov_b32_e32 v5, 2.0
	v_mov_b32_e32 v7, 0x40080000
	v_mov_b32_e32 v4, v1
	;; [unrolled: 1-line block ×7, first 2 shown]
	ds_write_b128 v19, v[0:3]
	ds_write_b128 v19, v[4:7] offset:16
	ds_write_b128 v19, v[8:11] offset:32
	;; [unrolled: 1-line block ×3, first 2 shown]
	; wave barrier
	ds_read2_b64 v[0:3], v20 offset1:32
	ds_read2_b64 v[4:7], v20 offset0:64 offset1:96
	ds_read2_b64 v[8:11], v20 offset0:128 offset1:160
	;; [unrolled: 1-line block ×3, first 2 shown]
	v_lshlrev_b32_e32 v18, 3, v18
	s_waitcnt lgkmcnt(0)
	v_add_co_u32 v16, vcc_lo, s0, v16
	v_add_co_ci_u32_e64 v17, null, s1, v17, vcc_lo
	v_add_co_u32 v16, vcc_lo, v16, v18
	v_add_co_ci_u32_e64 v17, null, 0, v17, vcc_lo
	global_store_dwordx2 v[16:17], v[0:1], off
	global_store_dwordx2 v[16:17], v[2:3], off offset:256
	global_store_dwordx2 v[16:17], v[4:5], off offset:512
	;; [unrolled: 1-line block ×7, first 2 shown]
	s_endpgm
	.section	.rodata,"a",@progbits
	.p2align	6, 0x0
	.amdhsa_kernel _Z17warp_store_kernelILj256ELj8ELj32ELN6hipcub18WarpStoreAlgorithmE3EdEvPT3_
		.amdhsa_group_segment_fixed_size 16384
		.amdhsa_private_segment_fixed_size 0
		.amdhsa_kernarg_size 8
		.amdhsa_user_sgpr_count 6
		.amdhsa_user_sgpr_private_segment_buffer 1
		.amdhsa_user_sgpr_dispatch_ptr 0
		.amdhsa_user_sgpr_queue_ptr 0
		.amdhsa_user_sgpr_kernarg_segment_ptr 1
		.amdhsa_user_sgpr_dispatch_id 0
		.amdhsa_user_sgpr_flat_scratch_init 0
		.amdhsa_user_sgpr_private_segment_size 0
		.amdhsa_wavefront_size32 1
		.amdhsa_uses_dynamic_stack 0
		.amdhsa_system_sgpr_private_segment_wavefront_offset 0
		.amdhsa_system_sgpr_workgroup_id_x 1
		.amdhsa_system_sgpr_workgroup_id_y 0
		.amdhsa_system_sgpr_workgroup_id_z 0
		.amdhsa_system_sgpr_workgroup_info 0
		.amdhsa_system_vgpr_workitem_id 0
		.amdhsa_next_free_vgpr 21
		.amdhsa_next_free_sgpr 7
		.amdhsa_reserve_vcc 1
		.amdhsa_reserve_flat_scratch 0
		.amdhsa_float_round_mode_32 0
		.amdhsa_float_round_mode_16_64 0
		.amdhsa_float_denorm_mode_32 3
		.amdhsa_float_denorm_mode_16_64 3
		.amdhsa_dx10_clamp 1
		.amdhsa_ieee_mode 1
		.amdhsa_fp16_overflow 0
		.amdhsa_workgroup_processor_mode 1
		.amdhsa_memory_ordered 1
		.amdhsa_forward_progress 1
		.amdhsa_shared_vgpr_count 0
		.amdhsa_exception_fp_ieee_invalid_op 0
		.amdhsa_exception_fp_denorm_src 0
		.amdhsa_exception_fp_ieee_div_zero 0
		.amdhsa_exception_fp_ieee_overflow 0
		.amdhsa_exception_fp_ieee_underflow 0
		.amdhsa_exception_fp_ieee_inexact 0
		.amdhsa_exception_int_div_zero 0
	.end_amdhsa_kernel
	.section	.text._Z17warp_store_kernelILj256ELj8ELj32ELN6hipcub18WarpStoreAlgorithmE3EdEvPT3_,"axG",@progbits,_Z17warp_store_kernelILj256ELj8ELj32ELN6hipcub18WarpStoreAlgorithmE3EdEvPT3_,comdat
.Lfunc_end26:
	.size	_Z17warp_store_kernelILj256ELj8ELj32ELN6hipcub18WarpStoreAlgorithmE3EdEvPT3_, .Lfunc_end26-_Z17warp_store_kernelILj256ELj8ELj32ELN6hipcub18WarpStoreAlgorithmE3EdEvPT3_
                                        ; -- End function
	.set _Z17warp_store_kernelILj256ELj8ELj32ELN6hipcub18WarpStoreAlgorithmE3EdEvPT3_.num_vgpr, 21
	.set _Z17warp_store_kernelILj256ELj8ELj32ELN6hipcub18WarpStoreAlgorithmE3EdEvPT3_.num_agpr, 0
	.set _Z17warp_store_kernelILj256ELj8ELj32ELN6hipcub18WarpStoreAlgorithmE3EdEvPT3_.numbered_sgpr, 7
	.set _Z17warp_store_kernelILj256ELj8ELj32ELN6hipcub18WarpStoreAlgorithmE3EdEvPT3_.num_named_barrier, 0
	.set _Z17warp_store_kernelILj256ELj8ELj32ELN6hipcub18WarpStoreAlgorithmE3EdEvPT3_.private_seg_size, 0
	.set _Z17warp_store_kernelILj256ELj8ELj32ELN6hipcub18WarpStoreAlgorithmE3EdEvPT3_.uses_vcc, 1
	.set _Z17warp_store_kernelILj256ELj8ELj32ELN6hipcub18WarpStoreAlgorithmE3EdEvPT3_.uses_flat_scratch, 0
	.set _Z17warp_store_kernelILj256ELj8ELj32ELN6hipcub18WarpStoreAlgorithmE3EdEvPT3_.has_dyn_sized_stack, 0
	.set _Z17warp_store_kernelILj256ELj8ELj32ELN6hipcub18WarpStoreAlgorithmE3EdEvPT3_.has_recursion, 0
	.set _Z17warp_store_kernelILj256ELj8ELj32ELN6hipcub18WarpStoreAlgorithmE3EdEvPT3_.has_indirect_call, 0
	.section	.AMDGPU.csdata,"",@progbits
; Kernel info:
; codeLenInByte = 324
; TotalNumSgprs: 9
; NumVgprs: 21
; ScratchSize: 0
; MemoryBound: 1
; FloatMode: 240
; IeeeMode: 1
; LDSByteSize: 16384 bytes/workgroup (compile time only)
; SGPRBlocks: 0
; VGPRBlocks: 2
; NumSGPRsForWavesPerEU: 9
; NumVGPRsForWavesPerEU: 21
; Occupancy: 16
; WaveLimiterHint : 1
; COMPUTE_PGM_RSRC2:SCRATCH_EN: 0
; COMPUTE_PGM_RSRC2:USER_SGPR: 6
; COMPUTE_PGM_RSRC2:TRAP_HANDLER: 0
; COMPUTE_PGM_RSRC2:TGID_X_EN: 1
; COMPUTE_PGM_RSRC2:TGID_Y_EN: 0
; COMPUTE_PGM_RSRC2:TGID_Z_EN: 0
; COMPUTE_PGM_RSRC2:TIDIG_COMP_CNT: 0
	.section	.text._Z17warp_store_kernelILj256ELj16ELj32ELN6hipcub18WarpStoreAlgorithmE0EdEvPT3_,"axG",@progbits,_Z17warp_store_kernelILj256ELj16ELj32ELN6hipcub18WarpStoreAlgorithmE0EdEvPT3_,comdat
	.protected	_Z17warp_store_kernelILj256ELj16ELj32ELN6hipcub18WarpStoreAlgorithmE0EdEvPT3_ ; -- Begin function _Z17warp_store_kernelILj256ELj16ELj32ELN6hipcub18WarpStoreAlgorithmE0EdEvPT3_
	.globl	_Z17warp_store_kernelILj256ELj16ELj32ELN6hipcub18WarpStoreAlgorithmE0EdEvPT3_
	.p2align	8
	.type	_Z17warp_store_kernelILj256ELj16ELj32ELN6hipcub18WarpStoreAlgorithmE0EdEvPT3_,@function
_Z17warp_store_kernelILj256ELj16ELj32ELN6hipcub18WarpStoreAlgorithmE0EdEvPT3_: ; @_Z17warp_store_kernelILj256ELj16ELj32ELN6hipcub18WarpStoreAlgorithmE0EdEvPT3_
; %bb.0:
	s_load_dwordx2 s[0:1], s[4:5], 0x0
	v_lshlrev_b32_e32 v0, 4, v0
	s_lshl_b32 s2, s6, 12
	v_mov_b32_e32 v1, 0
	v_mbcnt_lo_u32_b32 v2, -1, 0
	v_mov_b32_e32 v3, 0x3ff00000
	v_and_or_b32 v0, 0xe00, v0, s2
	v_mov_b32_e32 v5, 2.0
	v_mov_b32_e32 v7, 0x40080000
	v_lshlrev_b32_e32 v8, 7, v2
	v_mov_b32_e32 v2, v1
	v_lshlrev_b64 v[12:13], 3, v[0:1]
	v_mov_b32_e32 v0, v1
	v_mov_b32_e32 v4, v1
	;; [unrolled: 1-line block ×8, first 2 shown]
	s_waitcnt lgkmcnt(0)
	v_add_co_u32 v10, vcc_lo, s0, v12
	v_add_co_ci_u32_e64 v12, null, s1, v13, vcc_lo
	v_mov_b32_e32 v13, 0x40260000
	v_add_co_u32 v22, vcc_lo, v10, v8
	v_add_co_ci_u32_e64 v23, null, 0, v12, vcc_lo
	v_mov_b32_e32 v8, v1
	v_mov_b32_e32 v10, v1
	;; [unrolled: 1-line block ×3, first 2 shown]
	global_store_dwordx4 v[22:23], v[0:3], off
	global_store_dwordx4 v[22:23], v[4:7], off offset:16
	global_store_dwordx4 v[22:23], v[8:11], off offset:32
	v_mov_b32_e32 v3, 0x40180000
	v_mov_b32_e32 v5, 0x401c0000
	;; [unrolled: 1-line block ×10, first 2 shown]
	global_store_dwordx4 v[22:23], v[2:5], off offset:48
	global_store_dwordx4 v[22:23], v[6:9], off offset:64
	global_store_dwordx4 v[22:23], v[10:13], off offset:80
	global_store_dwordx4 v[22:23], v[14:17], off offset:96
	global_store_dwordx4 v[22:23], v[18:21], off offset:112
	s_endpgm
	.section	.rodata,"a",@progbits
	.p2align	6, 0x0
	.amdhsa_kernel _Z17warp_store_kernelILj256ELj16ELj32ELN6hipcub18WarpStoreAlgorithmE0EdEvPT3_
		.amdhsa_group_segment_fixed_size 0
		.amdhsa_private_segment_fixed_size 0
		.amdhsa_kernarg_size 8
		.amdhsa_user_sgpr_count 6
		.amdhsa_user_sgpr_private_segment_buffer 1
		.amdhsa_user_sgpr_dispatch_ptr 0
		.amdhsa_user_sgpr_queue_ptr 0
		.amdhsa_user_sgpr_kernarg_segment_ptr 1
		.amdhsa_user_sgpr_dispatch_id 0
		.amdhsa_user_sgpr_flat_scratch_init 0
		.amdhsa_user_sgpr_private_segment_size 0
		.amdhsa_wavefront_size32 1
		.amdhsa_uses_dynamic_stack 0
		.amdhsa_system_sgpr_private_segment_wavefront_offset 0
		.amdhsa_system_sgpr_workgroup_id_x 1
		.amdhsa_system_sgpr_workgroup_id_y 0
		.amdhsa_system_sgpr_workgroup_id_z 0
		.amdhsa_system_sgpr_workgroup_info 0
		.amdhsa_system_vgpr_workitem_id 0
		.amdhsa_next_free_vgpr 24
		.amdhsa_next_free_sgpr 7
		.amdhsa_reserve_vcc 1
		.amdhsa_reserve_flat_scratch 0
		.amdhsa_float_round_mode_32 0
		.amdhsa_float_round_mode_16_64 0
		.amdhsa_float_denorm_mode_32 3
		.amdhsa_float_denorm_mode_16_64 3
		.amdhsa_dx10_clamp 1
		.amdhsa_ieee_mode 1
		.amdhsa_fp16_overflow 0
		.amdhsa_workgroup_processor_mode 1
		.amdhsa_memory_ordered 1
		.amdhsa_forward_progress 1
		.amdhsa_shared_vgpr_count 0
		.amdhsa_exception_fp_ieee_invalid_op 0
		.amdhsa_exception_fp_denorm_src 0
		.amdhsa_exception_fp_ieee_div_zero 0
		.amdhsa_exception_fp_ieee_overflow 0
		.amdhsa_exception_fp_ieee_underflow 0
		.amdhsa_exception_fp_ieee_inexact 0
		.amdhsa_exception_int_div_zero 0
	.end_amdhsa_kernel
	.section	.text._Z17warp_store_kernelILj256ELj16ELj32ELN6hipcub18WarpStoreAlgorithmE0EdEvPT3_,"axG",@progbits,_Z17warp_store_kernelILj256ELj16ELj32ELN6hipcub18WarpStoreAlgorithmE0EdEvPT3_,comdat
.Lfunc_end27:
	.size	_Z17warp_store_kernelILj256ELj16ELj32ELN6hipcub18WarpStoreAlgorithmE0EdEvPT3_, .Lfunc_end27-_Z17warp_store_kernelILj256ELj16ELj32ELN6hipcub18WarpStoreAlgorithmE0EdEvPT3_
                                        ; -- End function
	.set _Z17warp_store_kernelILj256ELj16ELj32ELN6hipcub18WarpStoreAlgorithmE0EdEvPT3_.num_vgpr, 24
	.set _Z17warp_store_kernelILj256ELj16ELj32ELN6hipcub18WarpStoreAlgorithmE0EdEvPT3_.num_agpr, 0
	.set _Z17warp_store_kernelILj256ELj16ELj32ELN6hipcub18WarpStoreAlgorithmE0EdEvPT3_.numbered_sgpr, 7
	.set _Z17warp_store_kernelILj256ELj16ELj32ELN6hipcub18WarpStoreAlgorithmE0EdEvPT3_.num_named_barrier, 0
	.set _Z17warp_store_kernelILj256ELj16ELj32ELN6hipcub18WarpStoreAlgorithmE0EdEvPT3_.private_seg_size, 0
	.set _Z17warp_store_kernelILj256ELj16ELj32ELN6hipcub18WarpStoreAlgorithmE0EdEvPT3_.uses_vcc, 1
	.set _Z17warp_store_kernelILj256ELj16ELj32ELN6hipcub18WarpStoreAlgorithmE0EdEvPT3_.uses_flat_scratch, 0
	.set _Z17warp_store_kernelILj256ELj16ELj32ELN6hipcub18WarpStoreAlgorithmE0EdEvPT3_.has_dyn_sized_stack, 0
	.set _Z17warp_store_kernelILj256ELj16ELj32ELN6hipcub18WarpStoreAlgorithmE0EdEvPT3_.has_recursion, 0
	.set _Z17warp_store_kernelILj256ELj16ELj32ELN6hipcub18WarpStoreAlgorithmE0EdEvPT3_.has_indirect_call, 0
	.section	.AMDGPU.csdata,"",@progbits
; Kernel info:
; codeLenInByte = 316
; TotalNumSgprs: 9
; NumVgprs: 24
; ScratchSize: 0
; MemoryBound: 1
; FloatMode: 240
; IeeeMode: 1
; LDSByteSize: 0 bytes/workgroup (compile time only)
; SGPRBlocks: 0
; VGPRBlocks: 2
; NumSGPRsForWavesPerEU: 9
; NumVGPRsForWavesPerEU: 24
; Occupancy: 16
; WaveLimiterHint : 1
; COMPUTE_PGM_RSRC2:SCRATCH_EN: 0
; COMPUTE_PGM_RSRC2:USER_SGPR: 6
; COMPUTE_PGM_RSRC2:TRAP_HANDLER: 0
; COMPUTE_PGM_RSRC2:TGID_X_EN: 1
; COMPUTE_PGM_RSRC2:TGID_Y_EN: 0
; COMPUTE_PGM_RSRC2:TGID_Z_EN: 0
; COMPUTE_PGM_RSRC2:TIDIG_COMP_CNT: 0
	.section	.text._Z17warp_store_kernelILj256ELj16ELj32ELN6hipcub18WarpStoreAlgorithmE1EdEvPT3_,"axG",@progbits,_Z17warp_store_kernelILj256ELj16ELj32ELN6hipcub18WarpStoreAlgorithmE1EdEvPT3_,comdat
	.protected	_Z17warp_store_kernelILj256ELj16ELj32ELN6hipcub18WarpStoreAlgorithmE1EdEvPT3_ ; -- Begin function _Z17warp_store_kernelILj256ELj16ELj32ELN6hipcub18WarpStoreAlgorithmE1EdEvPT3_
	.globl	_Z17warp_store_kernelILj256ELj16ELj32ELN6hipcub18WarpStoreAlgorithmE1EdEvPT3_
	.p2align	8
	.type	_Z17warp_store_kernelILj256ELj16ELj32ELN6hipcub18WarpStoreAlgorithmE1EdEvPT3_,@function
_Z17warp_store_kernelILj256ELj16ELj32ELN6hipcub18WarpStoreAlgorithmE1EdEvPT3_: ; @_Z17warp_store_kernelILj256ELj16ELj32ELN6hipcub18WarpStoreAlgorithmE1EdEvPT3_
; %bb.0:
	s_load_dwordx2 s[0:1], s[4:5], 0x0
	v_lshlrev_b32_e32 v0, 4, v0
	s_lshl_b32 s2, s6, 12
	v_mov_b32_e32 v1, 0
	v_mbcnt_lo_u32_b32 v2, -1, 0
	v_mov_b32_e32 v3, 0x3ff00000
	v_and_or_b32 v0, 0xe00, v0, s2
	v_mov_b32_e32 v5, 2.0
	v_mov_b32_e32 v7, 0x40080000
	v_lshlrev_b32_e32 v4, 3, v2
	v_mov_b32_e32 v2, v1
	v_lshlrev_b64 v[8:9], 3, v[0:1]
	v_mov_b32_e32 v0, v1
	v_mov_b32_e32 v10, 0x40100000
	v_mov_b32_e32 v12, 0x40140000
	v_mov_b32_e32 v11, v1
	v_mov_b32_e32 v16, 0x40240000
	v_mov_b32_e32 v15, v1
	s_waitcnt lgkmcnt(0)
	v_add_co_u32 v6, vcc_lo, s0, v8
	v_add_co_ci_u32_e64 v8, null, s1, v9, vcc_lo
	v_mov_b32_e32 v9, v1
	v_add_co_u32 v13, vcc_lo, v6, v4
	v_add_co_ci_u32_e64 v14, null, 0, v8, vcc_lo
	v_mov_b32_e32 v4, v1
	v_mov_b32_e32 v6, v1
	;; [unrolled: 1-line block ×3, first 2 shown]
	global_store_dwordx2 v[13:14], v[0:1], off
	global_store_dwordx2 v[13:14], v[2:3], off offset:256
	global_store_dwordx2 v[13:14], v[4:5], off offset:512
	;; [unrolled: 1-line block ×5, first 2 shown]
	v_mov_b32_e32 v3, 0x40180000
	v_add_co_u32 v6, vcc_lo, 0x800, v13
	v_mov_b32_e32 v5, 0x401c0000
	v_add_co_ci_u32_e64 v7, null, 0, v14, vcc_lo
	v_mov_b32_e32 v9, 0x40200000
	v_mov_b32_e32 v11, 0x40220000
	;; [unrolled: 1-line block ×3, first 2 shown]
	global_store_dwordx2 v[13:14], v[2:3], off offset:1536
	global_store_dwordx2 v[13:14], v[4:5], off offset:1792
	global_store_dwordx2 v[6:7], v[8:9], off
	global_store_dwordx2 v[6:7], v[10:11], off offset:256
	global_store_dwordx2 v[6:7], v[15:16], off offset:512
	v_mov_b32_e32 v3, 0x40260000
	v_mov_b32_e32 v5, 0x40280000
	v_mov_b32_e32 v9, 0x402a0000
	v_mov_b32_e32 v11, 0x402c0000
	v_mov_b32_e32 v13, 0x402e0000
	v_mov_b32_e32 v12, v1
	global_store_dwordx2 v[6:7], v[2:3], off offset:768
	global_store_dwordx2 v[6:7], v[4:5], off offset:1024
	;; [unrolled: 1-line block ×5, first 2 shown]
	s_endpgm
	.section	.rodata,"a",@progbits
	.p2align	6, 0x0
	.amdhsa_kernel _Z17warp_store_kernelILj256ELj16ELj32ELN6hipcub18WarpStoreAlgorithmE1EdEvPT3_
		.amdhsa_group_segment_fixed_size 0
		.amdhsa_private_segment_fixed_size 0
		.amdhsa_kernarg_size 8
		.amdhsa_user_sgpr_count 6
		.amdhsa_user_sgpr_private_segment_buffer 1
		.amdhsa_user_sgpr_dispatch_ptr 0
		.amdhsa_user_sgpr_queue_ptr 0
		.amdhsa_user_sgpr_kernarg_segment_ptr 1
		.amdhsa_user_sgpr_dispatch_id 0
		.amdhsa_user_sgpr_flat_scratch_init 0
		.amdhsa_user_sgpr_private_segment_size 0
		.amdhsa_wavefront_size32 1
		.amdhsa_uses_dynamic_stack 0
		.amdhsa_system_sgpr_private_segment_wavefront_offset 0
		.amdhsa_system_sgpr_workgroup_id_x 1
		.amdhsa_system_sgpr_workgroup_id_y 0
		.amdhsa_system_sgpr_workgroup_id_z 0
		.amdhsa_system_sgpr_workgroup_info 0
		.amdhsa_system_vgpr_workitem_id 0
		.amdhsa_next_free_vgpr 17
		.amdhsa_next_free_sgpr 7
		.amdhsa_reserve_vcc 1
		.amdhsa_reserve_flat_scratch 0
		.amdhsa_float_round_mode_32 0
		.amdhsa_float_round_mode_16_64 0
		.amdhsa_float_denorm_mode_32 3
		.amdhsa_float_denorm_mode_16_64 3
		.amdhsa_dx10_clamp 1
		.amdhsa_ieee_mode 1
		.amdhsa_fp16_overflow 0
		.amdhsa_workgroup_processor_mode 1
		.amdhsa_memory_ordered 1
		.amdhsa_forward_progress 1
		.amdhsa_shared_vgpr_count 0
		.amdhsa_exception_fp_ieee_invalid_op 0
		.amdhsa_exception_fp_denorm_src 0
		.amdhsa_exception_fp_ieee_div_zero 0
		.amdhsa_exception_fp_ieee_overflow 0
		.amdhsa_exception_fp_ieee_underflow 0
		.amdhsa_exception_fp_ieee_inexact 0
		.amdhsa_exception_int_div_zero 0
	.end_amdhsa_kernel
	.section	.text._Z17warp_store_kernelILj256ELj16ELj32ELN6hipcub18WarpStoreAlgorithmE1EdEvPT3_,"axG",@progbits,_Z17warp_store_kernelILj256ELj16ELj32ELN6hipcub18WarpStoreAlgorithmE1EdEvPT3_,comdat
.Lfunc_end28:
	.size	_Z17warp_store_kernelILj256ELj16ELj32ELN6hipcub18WarpStoreAlgorithmE1EdEvPT3_, .Lfunc_end28-_Z17warp_store_kernelILj256ELj16ELj32ELN6hipcub18WarpStoreAlgorithmE1EdEvPT3_
                                        ; -- End function
	.set _Z17warp_store_kernelILj256ELj16ELj32ELN6hipcub18WarpStoreAlgorithmE1EdEvPT3_.num_vgpr, 17
	.set _Z17warp_store_kernelILj256ELj16ELj32ELN6hipcub18WarpStoreAlgorithmE1EdEvPT3_.num_agpr, 0
	.set _Z17warp_store_kernelILj256ELj16ELj32ELN6hipcub18WarpStoreAlgorithmE1EdEvPT3_.numbered_sgpr, 7
	.set _Z17warp_store_kernelILj256ELj16ELj32ELN6hipcub18WarpStoreAlgorithmE1EdEvPT3_.num_named_barrier, 0
	.set _Z17warp_store_kernelILj256ELj16ELj32ELN6hipcub18WarpStoreAlgorithmE1EdEvPT3_.private_seg_size, 0
	.set _Z17warp_store_kernelILj256ELj16ELj32ELN6hipcub18WarpStoreAlgorithmE1EdEvPT3_.uses_vcc, 1
	.set _Z17warp_store_kernelILj256ELj16ELj32ELN6hipcub18WarpStoreAlgorithmE1EdEvPT3_.uses_flat_scratch, 0
	.set _Z17warp_store_kernelILj256ELj16ELj32ELN6hipcub18WarpStoreAlgorithmE1EdEvPT3_.has_dyn_sized_stack, 0
	.set _Z17warp_store_kernelILj256ELj16ELj32ELN6hipcub18WarpStoreAlgorithmE1EdEvPT3_.has_recursion, 0
	.set _Z17warp_store_kernelILj256ELj16ELj32ELN6hipcub18WarpStoreAlgorithmE1EdEvPT3_.has_indirect_call, 0
	.section	.AMDGPU.csdata,"",@progbits
; Kernel info:
; codeLenInByte = 396
; TotalNumSgprs: 9
; NumVgprs: 17
; ScratchSize: 0
; MemoryBound: 1
; FloatMode: 240
; IeeeMode: 1
; LDSByteSize: 0 bytes/workgroup (compile time only)
; SGPRBlocks: 0
; VGPRBlocks: 2
; NumSGPRsForWavesPerEU: 9
; NumVGPRsForWavesPerEU: 17
; Occupancy: 16
; WaveLimiterHint : 1
; COMPUTE_PGM_RSRC2:SCRATCH_EN: 0
; COMPUTE_PGM_RSRC2:USER_SGPR: 6
; COMPUTE_PGM_RSRC2:TRAP_HANDLER: 0
; COMPUTE_PGM_RSRC2:TGID_X_EN: 1
; COMPUTE_PGM_RSRC2:TGID_Y_EN: 0
; COMPUTE_PGM_RSRC2:TGID_Z_EN: 0
; COMPUTE_PGM_RSRC2:TIDIG_COMP_CNT: 0
	.section	.text._Z17warp_store_kernelILj256ELj16ELj32ELN6hipcub18WarpStoreAlgorithmE2EdEvPT3_,"axG",@progbits,_Z17warp_store_kernelILj256ELj16ELj32ELN6hipcub18WarpStoreAlgorithmE2EdEvPT3_,comdat
	.protected	_Z17warp_store_kernelILj256ELj16ELj32ELN6hipcub18WarpStoreAlgorithmE2EdEvPT3_ ; -- Begin function _Z17warp_store_kernelILj256ELj16ELj32ELN6hipcub18WarpStoreAlgorithmE2EdEvPT3_
	.globl	_Z17warp_store_kernelILj256ELj16ELj32ELN6hipcub18WarpStoreAlgorithmE2EdEvPT3_
	.p2align	8
	.type	_Z17warp_store_kernelILj256ELj16ELj32ELN6hipcub18WarpStoreAlgorithmE2EdEvPT3_,@function
_Z17warp_store_kernelILj256ELj16ELj32ELN6hipcub18WarpStoreAlgorithmE2EdEvPT3_: ; @_Z17warp_store_kernelILj256ELj16ELj32ELN6hipcub18WarpStoreAlgorithmE2EdEvPT3_
; %bb.0:
	s_load_dwordx2 s[0:1], s[4:5], 0x0
	v_lshlrev_b32_e32 v0, 4, v0
	s_lshl_b32 s2, s6, 12
	v_mov_b32_e32 v1, 0
	v_mbcnt_lo_u32_b32 v2, -1, 0
	v_mov_b32_e32 v3, 0x3ff00000
	v_and_or_b32 v0, 0xe00, v0, s2
	v_mov_b32_e32 v5, 2.0
	v_mov_b32_e32 v7, 0x40080000
	v_lshlrev_b32_e32 v8, 7, v2
	v_mov_b32_e32 v2, v1
	v_lshlrev_b64 v[12:13], 3, v[0:1]
	v_mov_b32_e32 v0, v1
	v_mov_b32_e32 v4, v1
	;; [unrolled: 1-line block ×8, first 2 shown]
	s_waitcnt lgkmcnt(0)
	v_add_co_u32 v10, vcc_lo, s0, v12
	v_add_co_ci_u32_e64 v12, null, s1, v13, vcc_lo
	v_mov_b32_e32 v13, 0x40260000
	v_add_co_u32 v22, vcc_lo, v10, v8
	v_add_co_ci_u32_e64 v23, null, 0, v12, vcc_lo
	v_mov_b32_e32 v8, v1
	v_mov_b32_e32 v10, v1
	;; [unrolled: 1-line block ×3, first 2 shown]
	global_store_dwordx4 v[22:23], v[0:3], off
	global_store_dwordx4 v[22:23], v[4:7], off offset:16
	global_store_dwordx4 v[22:23], v[8:11], off offset:32
	v_mov_b32_e32 v3, 0x40180000
	v_mov_b32_e32 v5, 0x401c0000
	;; [unrolled: 1-line block ×10, first 2 shown]
	global_store_dwordx4 v[22:23], v[2:5], off offset:48
	global_store_dwordx4 v[22:23], v[6:9], off offset:64
	;; [unrolled: 1-line block ×5, first 2 shown]
	s_endpgm
	.section	.rodata,"a",@progbits
	.p2align	6, 0x0
	.amdhsa_kernel _Z17warp_store_kernelILj256ELj16ELj32ELN6hipcub18WarpStoreAlgorithmE2EdEvPT3_
		.amdhsa_group_segment_fixed_size 0
		.amdhsa_private_segment_fixed_size 0
		.amdhsa_kernarg_size 8
		.amdhsa_user_sgpr_count 6
		.amdhsa_user_sgpr_private_segment_buffer 1
		.amdhsa_user_sgpr_dispatch_ptr 0
		.amdhsa_user_sgpr_queue_ptr 0
		.amdhsa_user_sgpr_kernarg_segment_ptr 1
		.amdhsa_user_sgpr_dispatch_id 0
		.amdhsa_user_sgpr_flat_scratch_init 0
		.amdhsa_user_sgpr_private_segment_size 0
		.amdhsa_wavefront_size32 1
		.amdhsa_uses_dynamic_stack 0
		.amdhsa_system_sgpr_private_segment_wavefront_offset 0
		.amdhsa_system_sgpr_workgroup_id_x 1
		.amdhsa_system_sgpr_workgroup_id_y 0
		.amdhsa_system_sgpr_workgroup_id_z 0
		.amdhsa_system_sgpr_workgroup_info 0
		.amdhsa_system_vgpr_workitem_id 0
		.amdhsa_next_free_vgpr 24
		.amdhsa_next_free_sgpr 7
		.amdhsa_reserve_vcc 1
		.amdhsa_reserve_flat_scratch 0
		.amdhsa_float_round_mode_32 0
		.amdhsa_float_round_mode_16_64 0
		.amdhsa_float_denorm_mode_32 3
		.amdhsa_float_denorm_mode_16_64 3
		.amdhsa_dx10_clamp 1
		.amdhsa_ieee_mode 1
		.amdhsa_fp16_overflow 0
		.amdhsa_workgroup_processor_mode 1
		.amdhsa_memory_ordered 1
		.amdhsa_forward_progress 1
		.amdhsa_shared_vgpr_count 0
		.amdhsa_exception_fp_ieee_invalid_op 0
		.amdhsa_exception_fp_denorm_src 0
		.amdhsa_exception_fp_ieee_div_zero 0
		.amdhsa_exception_fp_ieee_overflow 0
		.amdhsa_exception_fp_ieee_underflow 0
		.amdhsa_exception_fp_ieee_inexact 0
		.amdhsa_exception_int_div_zero 0
	.end_amdhsa_kernel
	.section	.text._Z17warp_store_kernelILj256ELj16ELj32ELN6hipcub18WarpStoreAlgorithmE2EdEvPT3_,"axG",@progbits,_Z17warp_store_kernelILj256ELj16ELj32ELN6hipcub18WarpStoreAlgorithmE2EdEvPT3_,comdat
.Lfunc_end29:
	.size	_Z17warp_store_kernelILj256ELj16ELj32ELN6hipcub18WarpStoreAlgorithmE2EdEvPT3_, .Lfunc_end29-_Z17warp_store_kernelILj256ELj16ELj32ELN6hipcub18WarpStoreAlgorithmE2EdEvPT3_
                                        ; -- End function
	.set _Z17warp_store_kernelILj256ELj16ELj32ELN6hipcub18WarpStoreAlgorithmE2EdEvPT3_.num_vgpr, 24
	.set _Z17warp_store_kernelILj256ELj16ELj32ELN6hipcub18WarpStoreAlgorithmE2EdEvPT3_.num_agpr, 0
	.set _Z17warp_store_kernelILj256ELj16ELj32ELN6hipcub18WarpStoreAlgorithmE2EdEvPT3_.numbered_sgpr, 7
	.set _Z17warp_store_kernelILj256ELj16ELj32ELN6hipcub18WarpStoreAlgorithmE2EdEvPT3_.num_named_barrier, 0
	.set _Z17warp_store_kernelILj256ELj16ELj32ELN6hipcub18WarpStoreAlgorithmE2EdEvPT3_.private_seg_size, 0
	.set _Z17warp_store_kernelILj256ELj16ELj32ELN6hipcub18WarpStoreAlgorithmE2EdEvPT3_.uses_vcc, 1
	.set _Z17warp_store_kernelILj256ELj16ELj32ELN6hipcub18WarpStoreAlgorithmE2EdEvPT3_.uses_flat_scratch, 0
	.set _Z17warp_store_kernelILj256ELj16ELj32ELN6hipcub18WarpStoreAlgorithmE2EdEvPT3_.has_dyn_sized_stack, 0
	.set _Z17warp_store_kernelILj256ELj16ELj32ELN6hipcub18WarpStoreAlgorithmE2EdEvPT3_.has_recursion, 0
	.set _Z17warp_store_kernelILj256ELj16ELj32ELN6hipcub18WarpStoreAlgorithmE2EdEvPT3_.has_indirect_call, 0
	.section	.AMDGPU.csdata,"",@progbits
; Kernel info:
; codeLenInByte = 316
; TotalNumSgprs: 9
; NumVgprs: 24
; ScratchSize: 0
; MemoryBound: 1
; FloatMode: 240
; IeeeMode: 1
; LDSByteSize: 0 bytes/workgroup (compile time only)
; SGPRBlocks: 0
; VGPRBlocks: 2
; NumSGPRsForWavesPerEU: 9
; NumVGPRsForWavesPerEU: 24
; Occupancy: 16
; WaveLimiterHint : 1
; COMPUTE_PGM_RSRC2:SCRATCH_EN: 0
; COMPUTE_PGM_RSRC2:USER_SGPR: 6
; COMPUTE_PGM_RSRC2:TRAP_HANDLER: 0
; COMPUTE_PGM_RSRC2:TGID_X_EN: 1
; COMPUTE_PGM_RSRC2:TGID_Y_EN: 0
; COMPUTE_PGM_RSRC2:TGID_Z_EN: 0
; COMPUTE_PGM_RSRC2:TIDIG_COMP_CNT: 0
	.section	.text._Z17warp_store_kernelILj256ELj16ELj32ELN6hipcub18WarpStoreAlgorithmE3EdEvPT3_,"axG",@progbits,_Z17warp_store_kernelILj256ELj16ELj32ELN6hipcub18WarpStoreAlgorithmE3EdEvPT3_,comdat
	.protected	_Z17warp_store_kernelILj256ELj16ELj32ELN6hipcub18WarpStoreAlgorithmE3EdEvPT3_ ; -- Begin function _Z17warp_store_kernelILj256ELj16ELj32ELN6hipcub18WarpStoreAlgorithmE3EdEvPT3_
	.globl	_Z17warp_store_kernelILj256ELj16ELj32ELN6hipcub18WarpStoreAlgorithmE3EdEvPT3_
	.p2align	8
	.type	_Z17warp_store_kernelILj256ELj16ELj32ELN6hipcub18WarpStoreAlgorithmE3EdEvPT3_,@function
_Z17warp_store_kernelILj256ELj16ELj32ELN6hipcub18WarpStoreAlgorithmE3EdEvPT3_: ; @_Z17warp_store_kernelILj256ELj16ELj32ELN6hipcub18WarpStoreAlgorithmE3EdEvPT3_
; %bb.0:
	v_lshrrev_b32_e32 v4, 5, v0
	s_lshl_b32 s0, s6, 12
	v_mbcnt_lo_u32_b32 v20, -1, 0
	v_mov_b32_e32 v1, 0
	v_mov_b32_e32 v3, 0x3ff00000
	v_lshl_or_b32 v0, v4, 9, s0
	s_load_dwordx2 s[0:1], s[4:5], 0x0
	v_lshlrev_b32_e32 v6, 7, v20
	v_mov_b32_e32 v2, v1
	v_mov_b32_e32 v5, 2.0
	v_lshlrev_b64 v[18:19], 3, v[0:1]
	v_mov_b32_e32 v0, v1
	v_lshl_or_b32 v21, v4, 12, v6
	v_mov_b32_e32 v7, 0x40080000
	v_mov_b32_e32 v4, v1
	;; [unrolled: 1-line block ×11, first 2 shown]
	v_mad_i32_i24 v22, 0xffffff88, v20, v21
	ds_write_b128 v21, v[0:3]
	ds_write_b128 v21, v[4:7] offset:16
	ds_write_b128 v21, v[8:11] offset:32
	;; [unrolled: 1-line block ×3, first 2 shown]
	v_mov_b32_e32 v3, 0x40200000
	v_mov_b32_e32 v5, 0x40220000
	;; [unrolled: 1-line block ×9, first 2 shown]
	s_waitcnt lgkmcnt(0)
	v_add_co_u32 v24, vcc_lo, s0, v18
	v_lshlrev_b32_e32 v26, 3, v20
	v_add_nc_u32_e32 v28, 0x800, v22
	v_add_co_ci_u32_e64 v25, null, s1, v19, vcc_lo
	ds_write_b128 v21, v[2:5] offset:64
	ds_write_b128 v21, v[6:9] offset:80
	;; [unrolled: 1-line block ×4, first 2 shown]
	; wave barrier
	ds_read2_b64 v[0:3], v22 offset1:32
	ds_read2_b64 v[4:7], v22 offset0:64 offset1:96
	v_add_co_u32 v32, vcc_lo, v24, v26
	ds_read2_b64 v[8:11], v22 offset0:128 offset1:160
	ds_read2_b64 v[12:15], v22 offset0:192 offset1:224
	ds_read2_b64 v[16:19], v28 offset1:32
	ds_read2_b64 v[20:23], v28 offset0:64 offset1:96
	v_add_co_ci_u32_e64 v33, null, 0, v25, vcc_lo
	ds_read2_b64 v[24:27], v28 offset0:128 offset1:160
	ds_read2_b64 v[28:31], v28 offset0:192 offset1:224
	s_waitcnt lgkmcnt(7)
	global_store_dwordx2 v[32:33], v[0:1], off
	global_store_dwordx2 v[32:33], v[2:3], off offset:256
	s_waitcnt lgkmcnt(6)
	global_store_dwordx2 v[32:33], v[4:5], off offset:512
	global_store_dwordx2 v[32:33], v[6:7], off offset:768
	v_add_co_u32 v0, vcc_lo, 0x800, v32
	v_add_co_ci_u32_e64 v1, null, 0, v33, vcc_lo
	s_waitcnt lgkmcnt(5)
	global_store_dwordx2 v[32:33], v[8:9], off offset:1024
	global_store_dwordx2 v[32:33], v[10:11], off offset:1280
	s_waitcnt lgkmcnt(4)
	global_store_dwordx2 v[32:33], v[12:13], off offset:1536
	global_store_dwordx2 v[32:33], v[14:15], off offset:1792
	s_waitcnt lgkmcnt(3)
	global_store_dwordx2 v[0:1], v[16:17], off
	global_store_dwordx2 v[0:1], v[18:19], off offset:256
	s_waitcnt lgkmcnt(2)
	global_store_dwordx2 v[0:1], v[20:21], off offset:512
	global_store_dwordx2 v[0:1], v[22:23], off offset:768
	s_waitcnt lgkmcnt(1)
	global_store_dwordx2 v[0:1], v[24:25], off offset:1024
	;; [unrolled: 3-line block ×3, first 2 shown]
	global_store_dwordx2 v[0:1], v[30:31], off offset:1792
	s_endpgm
	.section	.rodata,"a",@progbits
	.p2align	6, 0x0
	.amdhsa_kernel _Z17warp_store_kernelILj256ELj16ELj32ELN6hipcub18WarpStoreAlgorithmE3EdEvPT3_
		.amdhsa_group_segment_fixed_size 32768
		.amdhsa_private_segment_fixed_size 0
		.amdhsa_kernarg_size 8
		.amdhsa_user_sgpr_count 6
		.amdhsa_user_sgpr_private_segment_buffer 1
		.amdhsa_user_sgpr_dispatch_ptr 0
		.amdhsa_user_sgpr_queue_ptr 0
		.amdhsa_user_sgpr_kernarg_segment_ptr 1
		.amdhsa_user_sgpr_dispatch_id 0
		.amdhsa_user_sgpr_flat_scratch_init 0
		.amdhsa_user_sgpr_private_segment_size 0
		.amdhsa_wavefront_size32 1
		.amdhsa_uses_dynamic_stack 0
		.amdhsa_system_sgpr_private_segment_wavefront_offset 0
		.amdhsa_system_sgpr_workgroup_id_x 1
		.amdhsa_system_sgpr_workgroup_id_y 0
		.amdhsa_system_sgpr_workgroup_id_z 0
		.amdhsa_system_sgpr_workgroup_info 0
		.amdhsa_system_vgpr_workitem_id 0
		.amdhsa_next_free_vgpr 113
		.amdhsa_next_free_sgpr 7
		.amdhsa_reserve_vcc 1
		.amdhsa_reserve_flat_scratch 0
		.amdhsa_float_round_mode_32 0
		.amdhsa_float_round_mode_16_64 0
		.amdhsa_float_denorm_mode_32 3
		.amdhsa_float_denorm_mode_16_64 3
		.amdhsa_dx10_clamp 1
		.amdhsa_ieee_mode 1
		.amdhsa_fp16_overflow 0
		.amdhsa_workgroup_processor_mode 1
		.amdhsa_memory_ordered 1
		.amdhsa_forward_progress 1
		.amdhsa_shared_vgpr_count 0
		.amdhsa_exception_fp_ieee_invalid_op 0
		.amdhsa_exception_fp_denorm_src 0
		.amdhsa_exception_fp_ieee_div_zero 0
		.amdhsa_exception_fp_ieee_overflow 0
		.amdhsa_exception_fp_ieee_underflow 0
		.amdhsa_exception_fp_ieee_inexact 0
		.amdhsa_exception_int_div_zero 0
	.end_amdhsa_kernel
	.section	.text._Z17warp_store_kernelILj256ELj16ELj32ELN6hipcub18WarpStoreAlgorithmE3EdEvPT3_,"axG",@progbits,_Z17warp_store_kernelILj256ELj16ELj32ELN6hipcub18WarpStoreAlgorithmE3EdEvPT3_,comdat
.Lfunc_end30:
	.size	_Z17warp_store_kernelILj256ELj16ELj32ELN6hipcub18WarpStoreAlgorithmE3EdEvPT3_, .Lfunc_end30-_Z17warp_store_kernelILj256ELj16ELj32ELN6hipcub18WarpStoreAlgorithmE3EdEvPT3_
                                        ; -- End function
	.set _Z17warp_store_kernelILj256ELj16ELj32ELN6hipcub18WarpStoreAlgorithmE3EdEvPT3_.num_vgpr, 34
	.set _Z17warp_store_kernelILj256ELj16ELj32ELN6hipcub18WarpStoreAlgorithmE3EdEvPT3_.num_agpr, 0
	.set _Z17warp_store_kernelILj256ELj16ELj32ELN6hipcub18WarpStoreAlgorithmE3EdEvPT3_.numbered_sgpr, 7
	.set _Z17warp_store_kernelILj256ELj16ELj32ELN6hipcub18WarpStoreAlgorithmE3EdEvPT3_.num_named_barrier, 0
	.set _Z17warp_store_kernelILj256ELj16ELj32ELN6hipcub18WarpStoreAlgorithmE3EdEvPT3_.private_seg_size, 0
	.set _Z17warp_store_kernelILj256ELj16ELj32ELN6hipcub18WarpStoreAlgorithmE3EdEvPT3_.uses_vcc, 1
	.set _Z17warp_store_kernelILj256ELj16ELj32ELN6hipcub18WarpStoreAlgorithmE3EdEvPT3_.uses_flat_scratch, 0
	.set _Z17warp_store_kernelILj256ELj16ELj32ELN6hipcub18WarpStoreAlgorithmE3EdEvPT3_.has_dyn_sized_stack, 0
	.set _Z17warp_store_kernelILj256ELj16ELj32ELN6hipcub18WarpStoreAlgorithmE3EdEvPT3_.has_recursion, 0
	.set _Z17warp_store_kernelILj256ELj16ELj32ELN6hipcub18WarpStoreAlgorithmE3EdEvPT3_.has_indirect_call, 0
	.section	.AMDGPU.csdata,"",@progbits
; Kernel info:
; codeLenInByte = 580
; TotalNumSgprs: 9
; NumVgprs: 34
; ScratchSize: 0
; MemoryBound: 1
; FloatMode: 240
; IeeeMode: 1
; LDSByteSize: 32768 bytes/workgroup (compile time only)
; SGPRBlocks: 0
; VGPRBlocks: 14
; NumSGPRsForWavesPerEU: 9
; NumVGPRsForWavesPerEU: 113
; Occupancy: 8
; WaveLimiterHint : 1
; COMPUTE_PGM_RSRC2:SCRATCH_EN: 0
; COMPUTE_PGM_RSRC2:USER_SGPR: 6
; COMPUTE_PGM_RSRC2:TRAP_HANDLER: 0
; COMPUTE_PGM_RSRC2:TGID_X_EN: 1
; COMPUTE_PGM_RSRC2:TGID_Y_EN: 0
; COMPUTE_PGM_RSRC2:TGID_Z_EN: 0
; COMPUTE_PGM_RSRC2:TIDIG_COMP_CNT: 0
	.section	.text._Z17warp_store_kernelILj256ELj32ELj32ELN6hipcub18WarpStoreAlgorithmE0EdEvPT3_,"axG",@progbits,_Z17warp_store_kernelILj256ELj32ELj32ELN6hipcub18WarpStoreAlgorithmE0EdEvPT3_,comdat
	.protected	_Z17warp_store_kernelILj256ELj32ELj32ELN6hipcub18WarpStoreAlgorithmE0EdEvPT3_ ; -- Begin function _Z17warp_store_kernelILj256ELj32ELj32ELN6hipcub18WarpStoreAlgorithmE0EdEvPT3_
	.globl	_Z17warp_store_kernelILj256ELj32ELj32ELN6hipcub18WarpStoreAlgorithmE0EdEvPT3_
	.p2align	8
	.type	_Z17warp_store_kernelILj256ELj32ELj32ELN6hipcub18WarpStoreAlgorithmE0EdEvPT3_,@function
_Z17warp_store_kernelILj256ELj32ELj32ELN6hipcub18WarpStoreAlgorithmE0EdEvPT3_: ; @_Z17warp_store_kernelILj256ELj32ELj32ELN6hipcub18WarpStoreAlgorithmE0EdEvPT3_
; %bb.0:
	s_load_dwordx2 s[0:1], s[4:5], 0x0
	v_lshlrev_b32_e32 v0, 5, v0
	s_lshl_b32 s2, s6, 13
	v_mov_b32_e32 v1, 0
	v_mbcnt_lo_u32_b32 v2, -1, 0
	v_mov_b32_e32 v3, 0x3ff00000
	v_and_or_b32 v0, 0x1c00, v0, s2
	v_mov_b32_e32 v5, 2.0
	v_mov_b32_e32 v7, 0x40080000
	v_lshlrev_b32_e32 v4, 8, v2
	v_mov_b32_e32 v2, v1
	v_lshlrev_b64 v[16:17], 3, v[0:1]
	v_mov_b32_e32 v0, v1
	v_mov_b32_e32 v9, 0x40100000
	;; [unrolled: 1-line block ×8, first 2 shown]
	s_waitcnt lgkmcnt(0)
	v_add_co_u32 v6, vcc_lo, s0, v16
	v_add_co_ci_u32_e64 v8, null, s1, v17, vcc_lo
	v_mov_b32_e32 v17, 0x40200000
	v_add_co_u32 v24, vcc_lo, v6, v4
	v_add_co_ci_u32_e64 v25, null, 0, v8, vcc_lo
	v_mov_b32_e32 v4, v1
	v_mov_b32_e32 v6, v1
	;; [unrolled: 1-line block ×10, first 2 shown]
	global_store_dwordx4 v[24:25], v[0:3], off
	global_store_dwordx4 v[24:25], v[4:7], off offset:16
	global_store_dwordx4 v[24:25], v[8:11], off offset:32
	;; [unrolled: 1-line block ×5, first 2 shown]
	v_mov_b32_e32 v3, 0x40280000
	v_mov_b32_e32 v5, 0x402a0000
	;; [unrolled: 1-line block ×10, first 2 shown]
	global_store_dwordx4 v[24:25], v[2:5], off offset:96
	global_store_dwordx4 v[24:25], v[6:9], off offset:112
	;; [unrolled: 1-line block ×5, first 2 shown]
	v_mov_b32_e32 v3, 0x40360000
	v_mov_b32_e32 v5, 0x40370000
	;; [unrolled: 1-line block ×10, first 2 shown]
	global_store_dwordx4 v[24:25], v[2:5], off offset:176
	global_store_dwordx4 v[24:25], v[6:9], off offset:192
	;; [unrolled: 1-line block ×5, first 2 shown]
	s_endpgm
	.section	.rodata,"a",@progbits
	.p2align	6, 0x0
	.amdhsa_kernel _Z17warp_store_kernelILj256ELj32ELj32ELN6hipcub18WarpStoreAlgorithmE0EdEvPT3_
		.amdhsa_group_segment_fixed_size 0
		.amdhsa_private_segment_fixed_size 0
		.amdhsa_kernarg_size 8
		.amdhsa_user_sgpr_count 6
		.amdhsa_user_sgpr_private_segment_buffer 1
		.amdhsa_user_sgpr_dispatch_ptr 0
		.amdhsa_user_sgpr_queue_ptr 0
		.amdhsa_user_sgpr_kernarg_segment_ptr 1
		.amdhsa_user_sgpr_dispatch_id 0
		.amdhsa_user_sgpr_flat_scratch_init 0
		.amdhsa_user_sgpr_private_segment_size 0
		.amdhsa_wavefront_size32 1
		.amdhsa_uses_dynamic_stack 0
		.amdhsa_system_sgpr_private_segment_wavefront_offset 0
		.amdhsa_system_sgpr_workgroup_id_x 1
		.amdhsa_system_sgpr_workgroup_id_y 0
		.amdhsa_system_sgpr_workgroup_id_z 0
		.amdhsa_system_sgpr_workgroup_info 0
		.amdhsa_system_vgpr_workitem_id 0
		.amdhsa_next_free_vgpr 26
		.amdhsa_next_free_sgpr 7
		.amdhsa_reserve_vcc 1
		.amdhsa_reserve_flat_scratch 0
		.amdhsa_float_round_mode_32 0
		.amdhsa_float_round_mode_16_64 0
		.amdhsa_float_denorm_mode_32 3
		.amdhsa_float_denorm_mode_16_64 3
		.amdhsa_dx10_clamp 1
		.amdhsa_ieee_mode 1
		.amdhsa_fp16_overflow 0
		.amdhsa_workgroup_processor_mode 1
		.amdhsa_memory_ordered 1
		.amdhsa_forward_progress 1
		.amdhsa_shared_vgpr_count 0
		.amdhsa_exception_fp_ieee_invalid_op 0
		.amdhsa_exception_fp_denorm_src 0
		.amdhsa_exception_fp_ieee_div_zero 0
		.amdhsa_exception_fp_ieee_overflow 0
		.amdhsa_exception_fp_ieee_underflow 0
		.amdhsa_exception_fp_ieee_inexact 0
		.amdhsa_exception_int_div_zero 0
	.end_amdhsa_kernel
	.section	.text._Z17warp_store_kernelILj256ELj32ELj32ELN6hipcub18WarpStoreAlgorithmE0EdEvPT3_,"axG",@progbits,_Z17warp_store_kernelILj256ELj32ELj32ELN6hipcub18WarpStoreAlgorithmE0EdEvPT3_,comdat
.Lfunc_end31:
	.size	_Z17warp_store_kernelILj256ELj32ELj32ELN6hipcub18WarpStoreAlgorithmE0EdEvPT3_, .Lfunc_end31-_Z17warp_store_kernelILj256ELj32ELj32ELN6hipcub18WarpStoreAlgorithmE0EdEvPT3_
                                        ; -- End function
	.set _Z17warp_store_kernelILj256ELj32ELj32ELN6hipcub18WarpStoreAlgorithmE0EdEvPT3_.num_vgpr, 26
	.set _Z17warp_store_kernelILj256ELj32ELj32ELN6hipcub18WarpStoreAlgorithmE0EdEvPT3_.num_agpr, 0
	.set _Z17warp_store_kernelILj256ELj32ELj32ELN6hipcub18WarpStoreAlgorithmE0EdEvPT3_.numbered_sgpr, 7
	.set _Z17warp_store_kernelILj256ELj32ELj32ELN6hipcub18WarpStoreAlgorithmE0EdEvPT3_.num_named_barrier, 0
	.set _Z17warp_store_kernelILj256ELj32ELj32ELN6hipcub18WarpStoreAlgorithmE0EdEvPT3_.private_seg_size, 0
	.set _Z17warp_store_kernelILj256ELj32ELj32ELN6hipcub18WarpStoreAlgorithmE0EdEvPT3_.uses_vcc, 1
	.set _Z17warp_store_kernelILj256ELj32ELj32ELN6hipcub18WarpStoreAlgorithmE0EdEvPT3_.uses_flat_scratch, 0
	.set _Z17warp_store_kernelILj256ELj32ELj32ELN6hipcub18WarpStoreAlgorithmE0EdEvPT3_.has_dyn_sized_stack, 0
	.set _Z17warp_store_kernelILj256ELj32ELj32ELN6hipcub18WarpStoreAlgorithmE0EdEvPT3_.has_recursion, 0
	.set _Z17warp_store_kernelILj256ELj32ELj32ELN6hipcub18WarpStoreAlgorithmE0EdEvPT3_.has_indirect_call, 0
	.section	.AMDGPU.csdata,"",@progbits
; Kernel info:
; codeLenInByte = 512
; TotalNumSgprs: 9
; NumVgprs: 26
; ScratchSize: 0
; MemoryBound: 1
; FloatMode: 240
; IeeeMode: 1
; LDSByteSize: 0 bytes/workgroup (compile time only)
; SGPRBlocks: 0
; VGPRBlocks: 3
; NumSGPRsForWavesPerEU: 9
; NumVGPRsForWavesPerEU: 26
; Occupancy: 16
; WaveLimiterHint : 1
; COMPUTE_PGM_RSRC2:SCRATCH_EN: 0
; COMPUTE_PGM_RSRC2:USER_SGPR: 6
; COMPUTE_PGM_RSRC2:TRAP_HANDLER: 0
; COMPUTE_PGM_RSRC2:TGID_X_EN: 1
; COMPUTE_PGM_RSRC2:TGID_Y_EN: 0
; COMPUTE_PGM_RSRC2:TGID_Z_EN: 0
; COMPUTE_PGM_RSRC2:TIDIG_COMP_CNT: 0
	.section	.text._Z17warp_store_kernelILj256ELj32ELj32ELN6hipcub18WarpStoreAlgorithmE1EdEvPT3_,"axG",@progbits,_Z17warp_store_kernelILj256ELj32ELj32ELN6hipcub18WarpStoreAlgorithmE1EdEvPT3_,comdat
	.protected	_Z17warp_store_kernelILj256ELj32ELj32ELN6hipcub18WarpStoreAlgorithmE1EdEvPT3_ ; -- Begin function _Z17warp_store_kernelILj256ELj32ELj32ELN6hipcub18WarpStoreAlgorithmE1EdEvPT3_
	.globl	_Z17warp_store_kernelILj256ELj32ELj32ELN6hipcub18WarpStoreAlgorithmE1EdEvPT3_
	.p2align	8
	.type	_Z17warp_store_kernelILj256ELj32ELj32ELN6hipcub18WarpStoreAlgorithmE1EdEvPT3_,@function
_Z17warp_store_kernelILj256ELj32ELj32ELN6hipcub18WarpStoreAlgorithmE1EdEvPT3_: ; @_Z17warp_store_kernelILj256ELj32ELj32ELN6hipcub18WarpStoreAlgorithmE1EdEvPT3_
; %bb.0:
	s_load_dwordx2 s[0:1], s[4:5], 0x0
	v_lshlrev_b32_e32 v0, 5, v0
	s_lshl_b32 s2, s6, 13
	v_mov_b32_e32 v1, 0
	v_mbcnt_lo_u32_b32 v2, -1, 0
	v_mov_b32_e32 v3, 0x3ff00000
	v_and_or_b32 v0, 0x1c00, v0, s2
	v_mov_b32_e32 v5, 2.0
	v_mov_b32_e32 v7, 0x40080000
	v_lshlrev_b32_e32 v4, 3, v2
	v_mov_b32_e32 v2, v1
	v_lshlrev_b64 v[8:9], 3, v[0:1]
	v_mov_b32_e32 v0, v1
	v_mov_b32_e32 v10, 0x40100000
	;; [unrolled: 1-line block ×8, first 2 shown]
	s_waitcnt lgkmcnt(0)
	v_add_co_u32 v6, vcc_lo, s0, v8
	v_add_co_ci_u32_e64 v8, null, s1, v9, vcc_lo
	v_mov_b32_e32 v9, v1
	v_add_co_u32 v13, vcc_lo, v6, v4
	v_add_co_ci_u32_e64 v14, null, 0, v8, vcc_lo
	v_mov_b32_e32 v4, v1
	v_mov_b32_e32 v6, v1
	;; [unrolled: 1-line block ×3, first 2 shown]
	global_store_dwordx2 v[13:14], v[0:1], off
	global_store_dwordx2 v[13:14], v[2:3], off offset:256
	global_store_dwordx2 v[13:14], v[4:5], off offset:512
	;; [unrolled: 1-line block ×5, first 2 shown]
	v_add_co_u32 v6, vcc_lo, 0x800, v13
	v_mov_b32_e32 v3, 0x40180000
	v_add_co_ci_u32_e64 v7, null, 0, v14, vcc_lo
	v_add_co_u32 v10, vcc_lo, v13, 0x1000
	v_mov_b32_e32 v5, 0x401c0000
	v_mov_b32_e32 v9, 0x40200000
	v_add_co_ci_u32_e64 v11, null, 0, v14, vcc_lo
	global_store_dwordx2 v[13:14], v[2:3], off offset:1536
	global_store_dwordx2 v[13:14], v[4:5], off offset:1792
	global_store_dwordx2 v[10:11], v[8:9], off offset:-2048
	global_store_dwordx2 v[6:7], v[15:16], off offset:256
	global_store_dwordx2 v[6:7], v[17:18], off offset:512
	v_mov_b32_e32 v3, 0x40260000
	v_mov_b32_e32 v5, 0x40280000
	;; [unrolled: 1-line block ×5, first 2 shown]
	global_store_dwordx2 v[6:7], v[2:3], off offset:768
	global_store_dwordx2 v[6:7], v[4:5], off offset:1024
	;; [unrolled: 1-line block ×5, first 2 shown]
	v_mov_b32_e32 v3, 0x40300000
	v_add_co_u32 v4, vcc_lo, 0x1000, v13
	v_add_co_ci_u32_e64 v5, null, 0, v14, vcc_lo
	global_store_dwordx2 v[10:11], v[2:3], off
	v_mov_b32_e32 v3, 0x40310000
	v_mov_b32_e32 v7, 0x40320000
	;; [unrolled: 1-line block ×7, first 2 shown]
	global_store_dwordx2 v[4:5], v[2:3], off offset:256
	global_store_dwordx2 v[4:5], v[6:7], off offset:512
	;; [unrolled: 1-line block ×5, first 2 shown]
	v_mov_b32_e32 v3, 0x40360000
	v_add_co_u32 v8, vcc_lo, 0x1800, v13
	v_mov_b32_e32 v7, 0x40370000
	v_add_co_ci_u32_e64 v9, null, 0, v14, vcc_lo
	v_mov_b32_e32 v11, 0x40380000
	v_mov_b32_e32 v13, 0x40390000
	;; [unrolled: 1-line block ×5, first 2 shown]
	global_store_dwordx2 v[4:5], v[2:3], off offset:1536
	global_store_dwordx2 v[4:5], v[6:7], off offset:1792
	global_store_dwordx2 v[8:9], v[10:11], off
	global_store_dwordx2 v[8:9], v[12:13], off offset:256
	global_store_dwordx2 v[8:9], v[14:15], off offset:512
	v_mov_b32_e32 v3, 0x403b0000
	v_mov_b32_e32 v5, 0x403c0000
	v_mov_b32_e32 v4, v1
	v_mov_b32_e32 v7, 0x403d0000
	v_mov_b32_e32 v11, 0x403e0000
	v_mov_b32_e32 v13, 0x403f0000
	global_store_dwordx2 v[8:9], v[2:3], off offset:768
	global_store_dwordx2 v[8:9], v[4:5], off offset:1024
	;; [unrolled: 1-line block ×5, first 2 shown]
	s_endpgm
	.section	.rodata,"a",@progbits
	.p2align	6, 0x0
	.amdhsa_kernel _Z17warp_store_kernelILj256ELj32ELj32ELN6hipcub18WarpStoreAlgorithmE1EdEvPT3_
		.amdhsa_group_segment_fixed_size 0
		.amdhsa_private_segment_fixed_size 0
		.amdhsa_kernarg_size 8
		.amdhsa_user_sgpr_count 6
		.amdhsa_user_sgpr_private_segment_buffer 1
		.amdhsa_user_sgpr_dispatch_ptr 0
		.amdhsa_user_sgpr_queue_ptr 0
		.amdhsa_user_sgpr_kernarg_segment_ptr 1
		.amdhsa_user_sgpr_dispatch_id 0
		.amdhsa_user_sgpr_flat_scratch_init 0
		.amdhsa_user_sgpr_private_segment_size 0
		.amdhsa_wavefront_size32 1
		.amdhsa_uses_dynamic_stack 0
		.amdhsa_system_sgpr_private_segment_wavefront_offset 0
		.amdhsa_system_sgpr_workgroup_id_x 1
		.amdhsa_system_sgpr_workgroup_id_y 0
		.amdhsa_system_sgpr_workgroup_id_z 0
		.amdhsa_system_sgpr_workgroup_info 0
		.amdhsa_system_vgpr_workitem_id 0
		.amdhsa_next_free_vgpr 19
		.amdhsa_next_free_sgpr 7
		.amdhsa_reserve_vcc 1
		.amdhsa_reserve_flat_scratch 0
		.amdhsa_float_round_mode_32 0
		.amdhsa_float_round_mode_16_64 0
		.amdhsa_float_denorm_mode_32 3
		.amdhsa_float_denorm_mode_16_64 3
		.amdhsa_dx10_clamp 1
		.amdhsa_ieee_mode 1
		.amdhsa_fp16_overflow 0
		.amdhsa_workgroup_processor_mode 1
		.amdhsa_memory_ordered 1
		.amdhsa_forward_progress 1
		.amdhsa_shared_vgpr_count 0
		.amdhsa_exception_fp_ieee_invalid_op 0
		.amdhsa_exception_fp_denorm_src 0
		.amdhsa_exception_fp_ieee_div_zero 0
		.amdhsa_exception_fp_ieee_overflow 0
		.amdhsa_exception_fp_ieee_underflow 0
		.amdhsa_exception_fp_ieee_inexact 0
		.amdhsa_exception_int_div_zero 0
	.end_amdhsa_kernel
	.section	.text._Z17warp_store_kernelILj256ELj32ELj32ELN6hipcub18WarpStoreAlgorithmE1EdEvPT3_,"axG",@progbits,_Z17warp_store_kernelILj256ELj32ELj32ELN6hipcub18WarpStoreAlgorithmE1EdEvPT3_,comdat
.Lfunc_end32:
	.size	_Z17warp_store_kernelILj256ELj32ELj32ELN6hipcub18WarpStoreAlgorithmE1EdEvPT3_, .Lfunc_end32-_Z17warp_store_kernelILj256ELj32ELj32ELN6hipcub18WarpStoreAlgorithmE1EdEvPT3_
                                        ; -- End function
	.set _Z17warp_store_kernelILj256ELj32ELj32ELN6hipcub18WarpStoreAlgorithmE1EdEvPT3_.num_vgpr, 19
	.set _Z17warp_store_kernelILj256ELj32ELj32ELN6hipcub18WarpStoreAlgorithmE1EdEvPT3_.num_agpr, 0
	.set _Z17warp_store_kernelILj256ELj32ELj32ELN6hipcub18WarpStoreAlgorithmE1EdEvPT3_.numbered_sgpr, 7
	.set _Z17warp_store_kernelILj256ELj32ELj32ELN6hipcub18WarpStoreAlgorithmE1EdEvPT3_.num_named_barrier, 0
	.set _Z17warp_store_kernelILj256ELj32ELj32ELN6hipcub18WarpStoreAlgorithmE1EdEvPT3_.private_seg_size, 0
	.set _Z17warp_store_kernelILj256ELj32ELj32ELN6hipcub18WarpStoreAlgorithmE1EdEvPT3_.uses_vcc, 1
	.set _Z17warp_store_kernelILj256ELj32ELj32ELN6hipcub18WarpStoreAlgorithmE1EdEvPT3_.uses_flat_scratch, 0
	.set _Z17warp_store_kernelILj256ELj32ELj32ELN6hipcub18WarpStoreAlgorithmE1EdEvPT3_.has_dyn_sized_stack, 0
	.set _Z17warp_store_kernelILj256ELj32ELj32ELN6hipcub18WarpStoreAlgorithmE1EdEvPT3_.has_recursion, 0
	.set _Z17warp_store_kernelILj256ELj32ELj32ELN6hipcub18WarpStoreAlgorithmE1EdEvPT3_.has_indirect_call, 0
	.section	.AMDGPU.csdata,"",@progbits
; Kernel info:
; codeLenInByte = 728
; TotalNumSgprs: 9
; NumVgprs: 19
; ScratchSize: 0
; MemoryBound: 1
; FloatMode: 240
; IeeeMode: 1
; LDSByteSize: 0 bytes/workgroup (compile time only)
; SGPRBlocks: 0
; VGPRBlocks: 2
; NumSGPRsForWavesPerEU: 9
; NumVGPRsForWavesPerEU: 19
; Occupancy: 16
; WaveLimiterHint : 1
; COMPUTE_PGM_RSRC2:SCRATCH_EN: 0
; COMPUTE_PGM_RSRC2:USER_SGPR: 6
; COMPUTE_PGM_RSRC2:TRAP_HANDLER: 0
; COMPUTE_PGM_RSRC2:TGID_X_EN: 1
; COMPUTE_PGM_RSRC2:TGID_Y_EN: 0
; COMPUTE_PGM_RSRC2:TGID_Z_EN: 0
; COMPUTE_PGM_RSRC2:TIDIG_COMP_CNT: 0
	.section	.text._Z17warp_store_kernelILj256ELj32ELj32ELN6hipcub18WarpStoreAlgorithmE2EdEvPT3_,"axG",@progbits,_Z17warp_store_kernelILj256ELj32ELj32ELN6hipcub18WarpStoreAlgorithmE2EdEvPT3_,comdat
	.protected	_Z17warp_store_kernelILj256ELj32ELj32ELN6hipcub18WarpStoreAlgorithmE2EdEvPT3_ ; -- Begin function _Z17warp_store_kernelILj256ELj32ELj32ELN6hipcub18WarpStoreAlgorithmE2EdEvPT3_
	.globl	_Z17warp_store_kernelILj256ELj32ELj32ELN6hipcub18WarpStoreAlgorithmE2EdEvPT3_
	.p2align	8
	.type	_Z17warp_store_kernelILj256ELj32ELj32ELN6hipcub18WarpStoreAlgorithmE2EdEvPT3_,@function
_Z17warp_store_kernelILj256ELj32ELj32ELN6hipcub18WarpStoreAlgorithmE2EdEvPT3_: ; @_Z17warp_store_kernelILj256ELj32ELj32ELN6hipcub18WarpStoreAlgorithmE2EdEvPT3_
; %bb.0:
	s_load_dwordx2 s[0:1], s[4:5], 0x0
	v_lshlrev_b32_e32 v0, 5, v0
	s_lshl_b32 s2, s6, 13
	v_mov_b32_e32 v1, 0
	v_mbcnt_lo_u32_b32 v2, -1, 0
	v_mov_b32_e32 v3, 0x3ff00000
	v_and_or_b32 v0, 0x1c00, v0, s2
	v_mov_b32_e32 v5, 2.0
	v_mov_b32_e32 v7, 0x40080000
	v_lshlrev_b32_e32 v4, 8, v2
	v_mov_b32_e32 v2, v1
	v_lshlrev_b64 v[16:17], 3, v[0:1]
	v_mov_b32_e32 v0, v1
	v_mov_b32_e32 v9, 0x40100000
	;; [unrolled: 1-line block ×8, first 2 shown]
	s_waitcnt lgkmcnt(0)
	v_add_co_u32 v6, vcc_lo, s0, v16
	v_add_co_ci_u32_e64 v8, null, s1, v17, vcc_lo
	v_mov_b32_e32 v17, 0x40200000
	v_add_co_u32 v24, vcc_lo, v6, v4
	v_add_co_ci_u32_e64 v25, null, 0, v8, vcc_lo
	v_mov_b32_e32 v4, v1
	v_mov_b32_e32 v6, v1
	;; [unrolled: 1-line block ×10, first 2 shown]
	global_store_dwordx4 v[24:25], v[0:3], off
	global_store_dwordx4 v[24:25], v[4:7], off offset:16
	global_store_dwordx4 v[24:25], v[8:11], off offset:32
	;; [unrolled: 1-line block ×5, first 2 shown]
	v_mov_b32_e32 v3, 0x40280000
	v_mov_b32_e32 v5, 0x402a0000
	;; [unrolled: 1-line block ×10, first 2 shown]
	global_store_dwordx4 v[24:25], v[2:5], off offset:96
	global_store_dwordx4 v[24:25], v[6:9], off offset:112
	;; [unrolled: 1-line block ×5, first 2 shown]
	v_mov_b32_e32 v3, 0x40360000
	v_mov_b32_e32 v5, 0x40370000
	;; [unrolled: 1-line block ×10, first 2 shown]
	global_store_dwordx4 v[24:25], v[2:5], off offset:176
	global_store_dwordx4 v[24:25], v[6:9], off offset:192
	;; [unrolled: 1-line block ×5, first 2 shown]
	s_endpgm
	.section	.rodata,"a",@progbits
	.p2align	6, 0x0
	.amdhsa_kernel _Z17warp_store_kernelILj256ELj32ELj32ELN6hipcub18WarpStoreAlgorithmE2EdEvPT3_
		.amdhsa_group_segment_fixed_size 0
		.amdhsa_private_segment_fixed_size 0
		.amdhsa_kernarg_size 8
		.amdhsa_user_sgpr_count 6
		.amdhsa_user_sgpr_private_segment_buffer 1
		.amdhsa_user_sgpr_dispatch_ptr 0
		.amdhsa_user_sgpr_queue_ptr 0
		.amdhsa_user_sgpr_kernarg_segment_ptr 1
		.amdhsa_user_sgpr_dispatch_id 0
		.amdhsa_user_sgpr_flat_scratch_init 0
		.amdhsa_user_sgpr_private_segment_size 0
		.amdhsa_wavefront_size32 1
		.amdhsa_uses_dynamic_stack 0
		.amdhsa_system_sgpr_private_segment_wavefront_offset 0
		.amdhsa_system_sgpr_workgroup_id_x 1
		.amdhsa_system_sgpr_workgroup_id_y 0
		.amdhsa_system_sgpr_workgroup_id_z 0
		.amdhsa_system_sgpr_workgroup_info 0
		.amdhsa_system_vgpr_workitem_id 0
		.amdhsa_next_free_vgpr 26
		.amdhsa_next_free_sgpr 7
		.amdhsa_reserve_vcc 1
		.amdhsa_reserve_flat_scratch 0
		.amdhsa_float_round_mode_32 0
		.amdhsa_float_round_mode_16_64 0
		.amdhsa_float_denorm_mode_32 3
		.amdhsa_float_denorm_mode_16_64 3
		.amdhsa_dx10_clamp 1
		.amdhsa_ieee_mode 1
		.amdhsa_fp16_overflow 0
		.amdhsa_workgroup_processor_mode 1
		.amdhsa_memory_ordered 1
		.amdhsa_forward_progress 1
		.amdhsa_shared_vgpr_count 0
		.amdhsa_exception_fp_ieee_invalid_op 0
		.amdhsa_exception_fp_denorm_src 0
		.amdhsa_exception_fp_ieee_div_zero 0
		.amdhsa_exception_fp_ieee_overflow 0
		.amdhsa_exception_fp_ieee_underflow 0
		.amdhsa_exception_fp_ieee_inexact 0
		.amdhsa_exception_int_div_zero 0
	.end_amdhsa_kernel
	.section	.text._Z17warp_store_kernelILj256ELj32ELj32ELN6hipcub18WarpStoreAlgorithmE2EdEvPT3_,"axG",@progbits,_Z17warp_store_kernelILj256ELj32ELj32ELN6hipcub18WarpStoreAlgorithmE2EdEvPT3_,comdat
.Lfunc_end33:
	.size	_Z17warp_store_kernelILj256ELj32ELj32ELN6hipcub18WarpStoreAlgorithmE2EdEvPT3_, .Lfunc_end33-_Z17warp_store_kernelILj256ELj32ELj32ELN6hipcub18WarpStoreAlgorithmE2EdEvPT3_
                                        ; -- End function
	.set _Z17warp_store_kernelILj256ELj32ELj32ELN6hipcub18WarpStoreAlgorithmE2EdEvPT3_.num_vgpr, 26
	.set _Z17warp_store_kernelILj256ELj32ELj32ELN6hipcub18WarpStoreAlgorithmE2EdEvPT3_.num_agpr, 0
	.set _Z17warp_store_kernelILj256ELj32ELj32ELN6hipcub18WarpStoreAlgorithmE2EdEvPT3_.numbered_sgpr, 7
	.set _Z17warp_store_kernelILj256ELj32ELj32ELN6hipcub18WarpStoreAlgorithmE2EdEvPT3_.num_named_barrier, 0
	.set _Z17warp_store_kernelILj256ELj32ELj32ELN6hipcub18WarpStoreAlgorithmE2EdEvPT3_.private_seg_size, 0
	.set _Z17warp_store_kernelILj256ELj32ELj32ELN6hipcub18WarpStoreAlgorithmE2EdEvPT3_.uses_vcc, 1
	.set _Z17warp_store_kernelILj256ELj32ELj32ELN6hipcub18WarpStoreAlgorithmE2EdEvPT3_.uses_flat_scratch, 0
	.set _Z17warp_store_kernelILj256ELj32ELj32ELN6hipcub18WarpStoreAlgorithmE2EdEvPT3_.has_dyn_sized_stack, 0
	.set _Z17warp_store_kernelILj256ELj32ELj32ELN6hipcub18WarpStoreAlgorithmE2EdEvPT3_.has_recursion, 0
	.set _Z17warp_store_kernelILj256ELj32ELj32ELN6hipcub18WarpStoreAlgorithmE2EdEvPT3_.has_indirect_call, 0
	.section	.AMDGPU.csdata,"",@progbits
; Kernel info:
; codeLenInByte = 512
; TotalNumSgprs: 9
; NumVgprs: 26
; ScratchSize: 0
; MemoryBound: 1
; FloatMode: 240
; IeeeMode: 1
; LDSByteSize: 0 bytes/workgroup (compile time only)
; SGPRBlocks: 0
; VGPRBlocks: 3
; NumSGPRsForWavesPerEU: 9
; NumVGPRsForWavesPerEU: 26
; Occupancy: 16
; WaveLimiterHint : 1
; COMPUTE_PGM_RSRC2:SCRATCH_EN: 0
; COMPUTE_PGM_RSRC2:USER_SGPR: 6
; COMPUTE_PGM_RSRC2:TRAP_HANDLER: 0
; COMPUTE_PGM_RSRC2:TGID_X_EN: 1
; COMPUTE_PGM_RSRC2:TGID_Y_EN: 0
; COMPUTE_PGM_RSRC2:TGID_Z_EN: 0
; COMPUTE_PGM_RSRC2:TIDIG_COMP_CNT: 0
	.section	.text._Z17warp_store_kernelILj256ELj64ELj32ELN6hipcub18WarpStoreAlgorithmE0EdEvPT3_,"axG",@progbits,_Z17warp_store_kernelILj256ELj64ELj32ELN6hipcub18WarpStoreAlgorithmE0EdEvPT3_,comdat
	.protected	_Z17warp_store_kernelILj256ELj64ELj32ELN6hipcub18WarpStoreAlgorithmE0EdEvPT3_ ; -- Begin function _Z17warp_store_kernelILj256ELj64ELj32ELN6hipcub18WarpStoreAlgorithmE0EdEvPT3_
	.globl	_Z17warp_store_kernelILj256ELj64ELj32ELN6hipcub18WarpStoreAlgorithmE0EdEvPT3_
	.p2align	8
	.type	_Z17warp_store_kernelILj256ELj64ELj32ELN6hipcub18WarpStoreAlgorithmE0EdEvPT3_,@function
_Z17warp_store_kernelILj256ELj64ELj32ELN6hipcub18WarpStoreAlgorithmE0EdEvPT3_: ; @_Z17warp_store_kernelILj256ELj64ELj32ELN6hipcub18WarpStoreAlgorithmE0EdEvPT3_
; %bb.0:
	s_load_dwordx2 s[0:1], s[4:5], 0x0
	v_lshlrev_b32_e32 v0, 6, v0
	s_lshl_b32 s2, s6, 14
	v_mov_b32_e32 v1, 0
	v_mbcnt_lo_u32_b32 v2, -1, 0
	v_mov_b32_e32 v3, 0x3ff00000
	v_and_or_b32 v0, 0x3800, v0, s2
	v_mov_b32_e32 v5, 2.0
	v_mov_b32_e32 v7, 0x40080000
	v_lshlrev_b32_e32 v6, 9, v2
	v_mov_b32_e32 v2, v1
	v_lshlrev_b64 v[12:13], 3, v[0:1]
	v_mov_b32_e32 v0, v1
	v_mov_b32_e32 v4, v1
	v_mov_b32_e32 v9, 0x40100000
	v_mov_b32_e32 v11, 0x40140000
	v_mov_b32_e32 v15, 0x401c0000
	v_mov_b32_e32 v14, v1
	v_mov_b32_e32 v17, 0x40240000
	v_mov_b32_e32 v19, 0x40260000
	s_waitcnt lgkmcnt(0)
	v_add_co_u32 v8, vcc_lo, s0, v12
	v_add_co_ci_u32_e64 v10, null, s1, v13, vcc_lo
	v_mov_b32_e32 v13, 0x40180000
	v_add_co_u32 v24, vcc_lo, v8, v6
	v_add_co_ci_u32_e64 v25, null, 0, v10, vcc_lo
	v_mov_b32_e32 v6, v1
	v_mov_b32_e32 v8, v1
	v_mov_b32_e32 v10, v1
	v_mov_b32_e32 v12, v1
	global_store_dwordx4 v[24:25], v[0:3], off
	global_store_dwordx4 v[24:25], v[4:7], off offset:16
	v_mov_b32_e32 v3, 0x40200000
	v_mov_b32_e32 v5, 0x40220000
	v_mov_b32_e32 v16, v1
	v_mov_b32_e32 v18, v1
	v_mov_b32_e32 v21, 0x40280000
	v_mov_b32_e32 v23, 0x402a0000
	v_mov_b32_e32 v20, v1
	v_mov_b32_e32 v22, v1
	global_store_dwordx4 v[24:25], v[8:11], off offset:32
	global_store_dwordx4 v[24:25], v[12:15], off offset:48
	global_store_dwordx4 v[24:25], v[2:5], off offset:64
	global_store_dwordx4 v[24:25], v[16:19], off offset:80
	global_store_dwordx4 v[24:25], v[20:23], off offset:96
	v_mov_b32_e32 v3, 0x402c0000
	v_mov_b32_e32 v5, 0x402e0000
	v_mov_b32_e32 v7, 0x40300000
	v_mov_b32_e32 v9, 0x40310000
	v_mov_b32_e32 v11, 0x40320000
	v_mov_b32_e32 v13, 0x40330000
	v_mov_b32_e32 v15, 0x40340000
	v_mov_b32_e32 v17, 0x40350000
	v_mov_b32_e32 v19, 0x40360000
	v_mov_b32_e32 v21, 0x40370000
	global_store_dwordx4 v[24:25], v[2:5], off offset:112
	global_store_dwordx4 v[24:25], v[6:9], off offset:128
	global_store_dwordx4 v[24:25], v[10:13], off offset:144
	global_store_dwordx4 v[24:25], v[14:17], off offset:160
	global_store_dwordx4 v[24:25], v[18:21], off offset:176
	v_mov_b32_e32 v3, 0x40380000
	v_mov_b32_e32 v5, 0x40390000
	;; [unrolled: 15-line block ×5, first 2 shown]
	v_mov_b32_e32 v7, 0x404c0000
	v_mov_b32_e32 v9, 0x404c8000
	;; [unrolled: 1-line block ×8, first 2 shown]
	global_store_dwordx4 v[24:25], v[2:5], off offset:432
	global_store_dwordx4 v[24:25], v[6:9], off offset:448
	global_store_dwordx4 v[24:25], v[10:13], off offset:464
	global_store_dwordx4 v[24:25], v[14:17], off offset:480
	global_store_dwordx4 v[24:25], v[18:21], off offset:496
	s_endpgm
	.section	.rodata,"a",@progbits
	.p2align	6, 0x0
	.amdhsa_kernel _Z17warp_store_kernelILj256ELj64ELj32ELN6hipcub18WarpStoreAlgorithmE0EdEvPT3_
		.amdhsa_group_segment_fixed_size 0
		.amdhsa_private_segment_fixed_size 0
		.amdhsa_kernarg_size 8
		.amdhsa_user_sgpr_count 6
		.amdhsa_user_sgpr_private_segment_buffer 1
		.amdhsa_user_sgpr_dispatch_ptr 0
		.amdhsa_user_sgpr_queue_ptr 0
		.amdhsa_user_sgpr_kernarg_segment_ptr 1
		.amdhsa_user_sgpr_dispatch_id 0
		.amdhsa_user_sgpr_flat_scratch_init 0
		.amdhsa_user_sgpr_private_segment_size 0
		.amdhsa_wavefront_size32 1
		.amdhsa_uses_dynamic_stack 0
		.amdhsa_system_sgpr_private_segment_wavefront_offset 0
		.amdhsa_system_sgpr_workgroup_id_x 1
		.amdhsa_system_sgpr_workgroup_id_y 0
		.amdhsa_system_sgpr_workgroup_id_z 0
		.amdhsa_system_sgpr_workgroup_info 0
		.amdhsa_system_vgpr_workitem_id 0
		.amdhsa_next_free_vgpr 26
		.amdhsa_next_free_sgpr 7
		.amdhsa_reserve_vcc 1
		.amdhsa_reserve_flat_scratch 0
		.amdhsa_float_round_mode_32 0
		.amdhsa_float_round_mode_16_64 0
		.amdhsa_float_denorm_mode_32 3
		.amdhsa_float_denorm_mode_16_64 3
		.amdhsa_dx10_clamp 1
		.amdhsa_ieee_mode 1
		.amdhsa_fp16_overflow 0
		.amdhsa_workgroup_processor_mode 1
		.amdhsa_memory_ordered 1
		.amdhsa_forward_progress 1
		.amdhsa_shared_vgpr_count 0
		.amdhsa_exception_fp_ieee_invalid_op 0
		.amdhsa_exception_fp_denorm_src 0
		.amdhsa_exception_fp_ieee_div_zero 0
		.amdhsa_exception_fp_ieee_overflow 0
		.amdhsa_exception_fp_ieee_underflow 0
		.amdhsa_exception_fp_ieee_inexact 0
		.amdhsa_exception_int_div_zero 0
	.end_amdhsa_kernel
	.section	.text._Z17warp_store_kernelILj256ELj64ELj32ELN6hipcub18WarpStoreAlgorithmE0EdEvPT3_,"axG",@progbits,_Z17warp_store_kernelILj256ELj64ELj32ELN6hipcub18WarpStoreAlgorithmE0EdEvPT3_,comdat
.Lfunc_end34:
	.size	_Z17warp_store_kernelILj256ELj64ELj32ELN6hipcub18WarpStoreAlgorithmE0EdEvPT3_, .Lfunc_end34-_Z17warp_store_kernelILj256ELj64ELj32ELN6hipcub18WarpStoreAlgorithmE0EdEvPT3_
                                        ; -- End function
	.set _Z17warp_store_kernelILj256ELj64ELj32ELN6hipcub18WarpStoreAlgorithmE0EdEvPT3_.num_vgpr, 26
	.set _Z17warp_store_kernelILj256ELj64ELj32ELN6hipcub18WarpStoreAlgorithmE0EdEvPT3_.num_agpr, 0
	.set _Z17warp_store_kernelILj256ELj64ELj32ELN6hipcub18WarpStoreAlgorithmE0EdEvPT3_.numbered_sgpr, 7
	.set _Z17warp_store_kernelILj256ELj64ELj32ELN6hipcub18WarpStoreAlgorithmE0EdEvPT3_.num_named_barrier, 0
	.set _Z17warp_store_kernelILj256ELj64ELj32ELN6hipcub18WarpStoreAlgorithmE0EdEvPT3_.private_seg_size, 0
	.set _Z17warp_store_kernelILj256ELj64ELj32ELN6hipcub18WarpStoreAlgorithmE0EdEvPT3_.uses_vcc, 1
	.set _Z17warp_store_kernelILj256ELj64ELj32ELN6hipcub18WarpStoreAlgorithmE0EdEvPT3_.uses_flat_scratch, 0
	.set _Z17warp_store_kernelILj256ELj64ELj32ELN6hipcub18WarpStoreAlgorithmE0EdEvPT3_.has_dyn_sized_stack, 0
	.set _Z17warp_store_kernelILj256ELj64ELj32ELN6hipcub18WarpStoreAlgorithmE0EdEvPT3_.has_recursion, 0
	.set _Z17warp_store_kernelILj256ELj64ELj32ELN6hipcub18WarpStoreAlgorithmE0EdEvPT3_.has_indirect_call, 0
	.section	.AMDGPU.csdata,"",@progbits
; Kernel info:
; codeLenInByte = 896
; TotalNumSgprs: 9
; NumVgprs: 26
; ScratchSize: 0
; MemoryBound: 1
; FloatMode: 240
; IeeeMode: 1
; LDSByteSize: 0 bytes/workgroup (compile time only)
; SGPRBlocks: 0
; VGPRBlocks: 3
; NumSGPRsForWavesPerEU: 9
; NumVGPRsForWavesPerEU: 26
; Occupancy: 16
; WaveLimiterHint : 1
; COMPUTE_PGM_RSRC2:SCRATCH_EN: 0
; COMPUTE_PGM_RSRC2:USER_SGPR: 6
; COMPUTE_PGM_RSRC2:TRAP_HANDLER: 0
; COMPUTE_PGM_RSRC2:TGID_X_EN: 1
; COMPUTE_PGM_RSRC2:TGID_Y_EN: 0
; COMPUTE_PGM_RSRC2:TGID_Z_EN: 0
; COMPUTE_PGM_RSRC2:TIDIG_COMP_CNT: 0
	.section	.text._Z17warp_store_kernelILj256ELj64ELj32ELN6hipcub18WarpStoreAlgorithmE1EdEvPT3_,"axG",@progbits,_Z17warp_store_kernelILj256ELj64ELj32ELN6hipcub18WarpStoreAlgorithmE1EdEvPT3_,comdat
	.protected	_Z17warp_store_kernelILj256ELj64ELj32ELN6hipcub18WarpStoreAlgorithmE1EdEvPT3_ ; -- Begin function _Z17warp_store_kernelILj256ELj64ELj32ELN6hipcub18WarpStoreAlgorithmE1EdEvPT3_
	.globl	_Z17warp_store_kernelILj256ELj64ELj32ELN6hipcub18WarpStoreAlgorithmE1EdEvPT3_
	.p2align	8
	.type	_Z17warp_store_kernelILj256ELj64ELj32ELN6hipcub18WarpStoreAlgorithmE1EdEvPT3_,@function
_Z17warp_store_kernelILj256ELj64ELj32ELN6hipcub18WarpStoreAlgorithmE1EdEvPT3_: ; @_Z17warp_store_kernelILj256ELj64ELj32ELN6hipcub18WarpStoreAlgorithmE1EdEvPT3_
; %bb.0:
	s_load_dwordx2 s[0:1], s[4:5], 0x0
	v_lshlrev_b32_e32 v0, 6, v0
	s_lshl_b32 s2, s6, 14
	v_mov_b32_e32 v1, 0
	v_mbcnt_lo_u32_b32 v2, -1, 0
	v_mov_b32_e32 v3, 0x3ff00000
	v_and_or_b32 v0, 0x3800, v0, s2
	v_mov_b32_e32 v5, 2.0
	v_mov_b32_e32 v7, 0x40080000
	v_lshlrev_b32_e32 v4, 3, v2
	v_mov_b32_e32 v2, v1
	v_lshlrev_b64 v[8:9], 3, v[0:1]
	v_mov_b32_e32 v0, v1
	v_mov_b32_e32 v10, 0x40100000
	;; [unrolled: 1-line block ×8, first 2 shown]
	s_waitcnt lgkmcnt(0)
	v_add_co_u32 v6, vcc_lo, s0, v8
	v_add_co_ci_u32_e64 v8, null, s1, v9, vcc_lo
	v_mov_b32_e32 v9, v1
	v_add_co_u32 v13, vcc_lo, v6, v4
	v_add_co_ci_u32_e64 v14, null, 0, v8, vcc_lo
	v_mov_b32_e32 v4, v1
	v_mov_b32_e32 v6, v1
	;; [unrolled: 1-line block ×3, first 2 shown]
	global_store_dwordx2 v[13:14], v[0:1], off
	global_store_dwordx2 v[13:14], v[2:3], off offset:256
	global_store_dwordx2 v[13:14], v[4:5], off offset:512
	;; [unrolled: 1-line block ×5, first 2 shown]
	v_add_co_u32 v6, vcc_lo, 0x800, v13
	v_mov_b32_e32 v3, 0x40180000
	v_add_co_ci_u32_e64 v7, null, 0, v14, vcc_lo
	v_add_co_u32 v10, vcc_lo, v13, 0x1000
	v_mov_b32_e32 v5, 0x401c0000
	v_mov_b32_e32 v9, 0x40200000
	v_add_co_ci_u32_e64 v11, null, 0, v14, vcc_lo
	global_store_dwordx2 v[13:14], v[2:3], off offset:1536
	global_store_dwordx2 v[13:14], v[4:5], off offset:1792
	global_store_dwordx2 v[10:11], v[8:9], off offset:-2048
	global_store_dwordx2 v[6:7], v[15:16], off offset:256
	global_store_dwordx2 v[6:7], v[17:18], off offset:512
	v_mov_b32_e32 v3, 0x40260000
	v_mov_b32_e32 v5, 0x40280000
	;; [unrolled: 1-line block ×5, first 2 shown]
	global_store_dwordx2 v[6:7], v[2:3], off offset:768
	global_store_dwordx2 v[6:7], v[4:5], off offset:1024
	;; [unrolled: 1-line block ×5, first 2 shown]
	v_mov_b32_e32 v3, 0x40300000
	v_add_co_u32 v4, vcc_lo, 0x1000, v13
	v_add_co_ci_u32_e64 v5, null, 0, v14, vcc_lo
	global_store_dwordx2 v[10:11], v[2:3], off
	v_mov_b32_e32 v3, 0x40310000
	v_mov_b32_e32 v7, 0x40320000
	;; [unrolled: 1-line block ×7, first 2 shown]
	global_store_dwordx2 v[4:5], v[2:3], off offset:256
	global_store_dwordx2 v[4:5], v[6:7], off offset:512
	global_store_dwordx2 v[4:5], v[8:9], off offset:768
	global_store_dwordx2 v[4:5], v[10:11], off offset:1024
	global_store_dwordx2 v[4:5], v[15:16], off offset:1280
	v_add_co_u32 v8, vcc_lo, 0x1800, v13
	v_mov_b32_e32 v3, 0x40360000
	v_add_co_ci_u32_e64 v9, null, 0, v14, vcc_lo
	v_add_co_u32 v15, vcc_lo, v13, 0x2000
	v_mov_b32_e32 v7, 0x40370000
	v_mov_b32_e32 v11, 0x40380000
	v_add_co_ci_u32_e64 v16, null, 0, v14, vcc_lo
	v_mov_b32_e32 v18, 0x40390000
	v_mov_b32_e32 v20, 0x403a0000
	;; [unrolled: 1-line block ×3, first 2 shown]
	global_store_dwordx2 v[4:5], v[2:3], off offset:1536
	global_store_dwordx2 v[4:5], v[6:7], off offset:1792
	global_store_dwordx2 v[15:16], v[10:11], off offset:-2048
	global_store_dwordx2 v[8:9], v[17:18], off offset:256
	global_store_dwordx2 v[8:9], v[19:20], off offset:512
	v_mov_b32_e32 v3, 0x403b0000
	v_mov_b32_e32 v5, 0x403c0000
	;; [unrolled: 1-line block ×6, first 2 shown]
	global_store_dwordx2 v[8:9], v[2:3], off offset:768
	global_store_dwordx2 v[8:9], v[4:5], off offset:1024
	;; [unrolled: 1-line block ×5, first 2 shown]
	v_mov_b32_e32 v3, 0x40400000
	v_add_co_u32 v4, vcc_lo, 0x2000, v13
	v_add_co_ci_u32_e64 v5, null, 0, v14, vcc_lo
	global_store_dwordx2 v[15:16], v[2:3], off
	v_mov_b32_e32 v3, 0x40408000
	v_mov_b32_e32 v7, 0x40410000
	;; [unrolled: 1-line block ×7, first 2 shown]
	global_store_dwordx2 v[4:5], v[2:3], off offset:256
	global_store_dwordx2 v[4:5], v[6:7], off offset:512
	;; [unrolled: 1-line block ×5, first 2 shown]
	v_add_co_u32 v8, vcc_lo, 0x2800, v13
	v_mov_b32_e32 v3, 0x40430000
	v_add_co_ci_u32_e64 v9, null, 0, v14, vcc_lo
	v_add_co_u32 v15, vcc_lo, v13, 0x3000
	v_mov_b32_e32 v7, 0x40438000
	v_mov_b32_e32 v11, 0x40440000
	v_add_co_ci_u32_e64 v16, null, 0, v14, vcc_lo
	v_mov_b32_e32 v18, 0x40448000
	v_mov_b32_e32 v20, 0x40450000
	global_store_dwordx2 v[4:5], v[2:3], off offset:1536
	global_store_dwordx2 v[4:5], v[6:7], off offset:1792
	global_store_dwordx2 v[15:16], v[10:11], off offset:-2048
	global_store_dwordx2 v[8:9], v[17:18], off offset:256
	global_store_dwordx2 v[8:9], v[19:20], off offset:512
	v_mov_b32_e32 v3, 0x40458000
	v_mov_b32_e32 v5, 0x40460000
	;; [unrolled: 1-line block ×6, first 2 shown]
	global_store_dwordx2 v[8:9], v[2:3], off offset:768
	global_store_dwordx2 v[8:9], v[4:5], off offset:1024
	;; [unrolled: 1-line block ×5, first 2 shown]
	v_mov_b32_e32 v3, 0x40480000
	v_add_co_u32 v4, vcc_lo, 0x3000, v13
	v_add_co_ci_u32_e64 v5, null, 0, v14, vcc_lo
	global_store_dwordx2 v[15:16], v[2:3], off
	v_mov_b32_e32 v3, 0x40488000
	v_mov_b32_e32 v7, 0x40490000
	;; [unrolled: 1-line block ×7, first 2 shown]
	global_store_dwordx2 v[4:5], v[2:3], off offset:256
	global_store_dwordx2 v[4:5], v[6:7], off offset:512
	;; [unrolled: 1-line block ×5, first 2 shown]
	v_mov_b32_e32 v3, 0x404b0000
	v_add_co_u32 v8, vcc_lo, 0x3800, v13
	v_mov_b32_e32 v7, 0x404b8000
	v_add_co_ci_u32_e64 v9, null, 0, v14, vcc_lo
	v_mov_b32_e32 v11, 0x404c0000
	v_mov_b32_e32 v13, 0x404c8000
	;; [unrolled: 1-line block ×5, first 2 shown]
	global_store_dwordx2 v[4:5], v[2:3], off offset:1536
	global_store_dwordx2 v[4:5], v[6:7], off offset:1792
	global_store_dwordx2 v[8:9], v[10:11], off
	global_store_dwordx2 v[8:9], v[12:13], off offset:256
	global_store_dwordx2 v[8:9], v[14:15], off offset:512
	v_mov_b32_e32 v3, 0x404d8000
	v_mov_b32_e32 v5, 0x404e0000
	;; [unrolled: 1-line block ×6, first 2 shown]
	global_store_dwordx2 v[8:9], v[2:3], off offset:768
	global_store_dwordx2 v[8:9], v[4:5], off offset:1024
	;; [unrolled: 1-line block ×5, first 2 shown]
	s_endpgm
	.section	.rodata,"a",@progbits
	.p2align	6, 0x0
	.amdhsa_kernel _Z17warp_store_kernelILj256ELj64ELj32ELN6hipcub18WarpStoreAlgorithmE1EdEvPT3_
		.amdhsa_group_segment_fixed_size 0
		.amdhsa_private_segment_fixed_size 0
		.amdhsa_kernarg_size 8
		.amdhsa_user_sgpr_count 6
		.amdhsa_user_sgpr_private_segment_buffer 1
		.amdhsa_user_sgpr_dispatch_ptr 0
		.amdhsa_user_sgpr_queue_ptr 0
		.amdhsa_user_sgpr_kernarg_segment_ptr 1
		.amdhsa_user_sgpr_dispatch_id 0
		.amdhsa_user_sgpr_flat_scratch_init 0
		.amdhsa_user_sgpr_private_segment_size 0
		.amdhsa_wavefront_size32 1
		.amdhsa_uses_dynamic_stack 0
		.amdhsa_system_sgpr_private_segment_wavefront_offset 0
		.amdhsa_system_sgpr_workgroup_id_x 1
		.amdhsa_system_sgpr_workgroup_id_y 0
		.amdhsa_system_sgpr_workgroup_id_z 0
		.amdhsa_system_sgpr_workgroup_info 0
		.amdhsa_system_vgpr_workitem_id 0
		.amdhsa_next_free_vgpr 21
		.amdhsa_next_free_sgpr 7
		.amdhsa_reserve_vcc 1
		.amdhsa_reserve_flat_scratch 0
		.amdhsa_float_round_mode_32 0
		.amdhsa_float_round_mode_16_64 0
		.amdhsa_float_denorm_mode_32 3
		.amdhsa_float_denorm_mode_16_64 3
		.amdhsa_dx10_clamp 1
		.amdhsa_ieee_mode 1
		.amdhsa_fp16_overflow 0
		.amdhsa_workgroup_processor_mode 1
		.amdhsa_memory_ordered 1
		.amdhsa_forward_progress 1
		.amdhsa_shared_vgpr_count 0
		.amdhsa_exception_fp_ieee_invalid_op 0
		.amdhsa_exception_fp_denorm_src 0
		.amdhsa_exception_fp_ieee_div_zero 0
		.amdhsa_exception_fp_ieee_overflow 0
		.amdhsa_exception_fp_ieee_underflow 0
		.amdhsa_exception_fp_ieee_inexact 0
		.amdhsa_exception_int_div_zero 0
	.end_amdhsa_kernel
	.section	.text._Z17warp_store_kernelILj256ELj64ELj32ELN6hipcub18WarpStoreAlgorithmE1EdEvPT3_,"axG",@progbits,_Z17warp_store_kernelILj256ELj64ELj32ELN6hipcub18WarpStoreAlgorithmE1EdEvPT3_,comdat
.Lfunc_end35:
	.size	_Z17warp_store_kernelILj256ELj64ELj32ELN6hipcub18WarpStoreAlgorithmE1EdEvPT3_, .Lfunc_end35-_Z17warp_store_kernelILj256ELj64ELj32ELN6hipcub18WarpStoreAlgorithmE1EdEvPT3_
                                        ; -- End function
	.set _Z17warp_store_kernelILj256ELj64ELj32ELN6hipcub18WarpStoreAlgorithmE1EdEvPT3_.num_vgpr, 21
	.set _Z17warp_store_kernelILj256ELj64ELj32ELN6hipcub18WarpStoreAlgorithmE1EdEvPT3_.num_agpr, 0
	.set _Z17warp_store_kernelILj256ELj64ELj32ELN6hipcub18WarpStoreAlgorithmE1EdEvPT3_.numbered_sgpr, 7
	.set _Z17warp_store_kernelILj256ELj64ELj32ELN6hipcub18WarpStoreAlgorithmE1EdEvPT3_.num_named_barrier, 0
	.set _Z17warp_store_kernelILj256ELj64ELj32ELN6hipcub18WarpStoreAlgorithmE1EdEvPT3_.private_seg_size, 0
	.set _Z17warp_store_kernelILj256ELj64ELj32ELN6hipcub18WarpStoreAlgorithmE1EdEvPT3_.uses_vcc, 1
	.set _Z17warp_store_kernelILj256ELj64ELj32ELN6hipcub18WarpStoreAlgorithmE1EdEvPT3_.uses_flat_scratch, 0
	.set _Z17warp_store_kernelILj256ELj64ELj32ELN6hipcub18WarpStoreAlgorithmE1EdEvPT3_.has_dyn_sized_stack, 0
	.set _Z17warp_store_kernelILj256ELj64ELj32ELN6hipcub18WarpStoreAlgorithmE1EdEvPT3_.has_recursion, 0
	.set _Z17warp_store_kernelILj256ELj64ELj32ELN6hipcub18WarpStoreAlgorithmE1EdEvPT3_.has_indirect_call, 0
	.section	.AMDGPU.csdata,"",@progbits
; Kernel info:
; codeLenInByte = 1388
; TotalNumSgprs: 9
; NumVgprs: 21
; ScratchSize: 0
; MemoryBound: 1
; FloatMode: 240
; IeeeMode: 1
; LDSByteSize: 0 bytes/workgroup (compile time only)
; SGPRBlocks: 0
; VGPRBlocks: 2
; NumSGPRsForWavesPerEU: 9
; NumVGPRsForWavesPerEU: 21
; Occupancy: 16
; WaveLimiterHint : 1
; COMPUTE_PGM_RSRC2:SCRATCH_EN: 0
; COMPUTE_PGM_RSRC2:USER_SGPR: 6
; COMPUTE_PGM_RSRC2:TRAP_HANDLER: 0
; COMPUTE_PGM_RSRC2:TGID_X_EN: 1
; COMPUTE_PGM_RSRC2:TGID_Y_EN: 0
; COMPUTE_PGM_RSRC2:TGID_Z_EN: 0
; COMPUTE_PGM_RSRC2:TIDIG_COMP_CNT: 0
	.section	.text._Z17warp_store_kernelILj256ELj64ELj32ELN6hipcub18WarpStoreAlgorithmE2EdEvPT3_,"axG",@progbits,_Z17warp_store_kernelILj256ELj64ELj32ELN6hipcub18WarpStoreAlgorithmE2EdEvPT3_,comdat
	.protected	_Z17warp_store_kernelILj256ELj64ELj32ELN6hipcub18WarpStoreAlgorithmE2EdEvPT3_ ; -- Begin function _Z17warp_store_kernelILj256ELj64ELj32ELN6hipcub18WarpStoreAlgorithmE2EdEvPT3_
	.globl	_Z17warp_store_kernelILj256ELj64ELj32ELN6hipcub18WarpStoreAlgorithmE2EdEvPT3_
	.p2align	8
	.type	_Z17warp_store_kernelILj256ELj64ELj32ELN6hipcub18WarpStoreAlgorithmE2EdEvPT3_,@function
_Z17warp_store_kernelILj256ELj64ELj32ELN6hipcub18WarpStoreAlgorithmE2EdEvPT3_: ; @_Z17warp_store_kernelILj256ELj64ELj32ELN6hipcub18WarpStoreAlgorithmE2EdEvPT3_
; %bb.0:
	s_load_dwordx2 s[0:1], s[4:5], 0x0
	v_lshlrev_b32_e32 v0, 6, v0
	s_lshl_b32 s2, s6, 14
	v_mov_b32_e32 v1, 0
	v_mbcnt_lo_u32_b32 v2, -1, 0
	v_mov_b32_e32 v3, 0x3ff00000
	v_and_or_b32 v0, 0x3800, v0, s2
	v_mov_b32_e32 v5, 2.0
	v_mov_b32_e32 v7, 0x40080000
	v_lshlrev_b32_e32 v6, 9, v2
	v_mov_b32_e32 v2, v1
	v_lshlrev_b64 v[12:13], 3, v[0:1]
	v_mov_b32_e32 v0, v1
	v_mov_b32_e32 v4, v1
	;; [unrolled: 1-line block ×8, first 2 shown]
	s_waitcnt lgkmcnt(0)
	v_add_co_u32 v8, vcc_lo, s0, v12
	v_add_co_ci_u32_e64 v10, null, s1, v13, vcc_lo
	v_mov_b32_e32 v13, 0x40180000
	v_add_co_u32 v24, vcc_lo, v8, v6
	v_add_co_ci_u32_e64 v25, null, 0, v10, vcc_lo
	v_mov_b32_e32 v6, v1
	v_mov_b32_e32 v8, v1
	;; [unrolled: 1-line block ×4, first 2 shown]
	global_store_dwordx4 v[24:25], v[0:3], off
	global_store_dwordx4 v[24:25], v[4:7], off offset:16
	v_mov_b32_e32 v3, 0x40200000
	v_mov_b32_e32 v5, 0x40220000
	v_mov_b32_e32 v16, v1
	v_mov_b32_e32 v18, v1
	v_mov_b32_e32 v21, 0x40280000
	v_mov_b32_e32 v23, 0x402a0000
	v_mov_b32_e32 v20, v1
	v_mov_b32_e32 v22, v1
	global_store_dwordx4 v[24:25], v[8:11], off offset:32
	global_store_dwordx4 v[24:25], v[12:15], off offset:48
	global_store_dwordx4 v[24:25], v[2:5], off offset:64
	global_store_dwordx4 v[24:25], v[16:19], off offset:80
	global_store_dwordx4 v[24:25], v[20:23], off offset:96
	v_mov_b32_e32 v3, 0x402c0000
	v_mov_b32_e32 v5, 0x402e0000
	v_mov_b32_e32 v7, 0x40300000
	v_mov_b32_e32 v9, 0x40310000
	v_mov_b32_e32 v11, 0x40320000
	v_mov_b32_e32 v13, 0x40330000
	v_mov_b32_e32 v15, 0x40340000
	v_mov_b32_e32 v17, 0x40350000
	v_mov_b32_e32 v19, 0x40360000
	v_mov_b32_e32 v21, 0x40370000
	global_store_dwordx4 v[24:25], v[2:5], off offset:112
	global_store_dwordx4 v[24:25], v[6:9], off offset:128
	global_store_dwordx4 v[24:25], v[10:13], off offset:144
	global_store_dwordx4 v[24:25], v[14:17], off offset:160
	global_store_dwordx4 v[24:25], v[18:21], off offset:176
	v_mov_b32_e32 v3, 0x40380000
	v_mov_b32_e32 v5, 0x40390000
	;; [unrolled: 15-line block ×5, first 2 shown]
	v_mov_b32_e32 v7, 0x404c0000
	v_mov_b32_e32 v9, 0x404c8000
	;; [unrolled: 1-line block ×8, first 2 shown]
	global_store_dwordx4 v[24:25], v[2:5], off offset:432
	global_store_dwordx4 v[24:25], v[6:9], off offset:448
	;; [unrolled: 1-line block ×5, first 2 shown]
	s_endpgm
	.section	.rodata,"a",@progbits
	.p2align	6, 0x0
	.amdhsa_kernel _Z17warp_store_kernelILj256ELj64ELj32ELN6hipcub18WarpStoreAlgorithmE2EdEvPT3_
		.amdhsa_group_segment_fixed_size 0
		.amdhsa_private_segment_fixed_size 0
		.amdhsa_kernarg_size 8
		.amdhsa_user_sgpr_count 6
		.amdhsa_user_sgpr_private_segment_buffer 1
		.amdhsa_user_sgpr_dispatch_ptr 0
		.amdhsa_user_sgpr_queue_ptr 0
		.amdhsa_user_sgpr_kernarg_segment_ptr 1
		.amdhsa_user_sgpr_dispatch_id 0
		.amdhsa_user_sgpr_flat_scratch_init 0
		.amdhsa_user_sgpr_private_segment_size 0
		.amdhsa_wavefront_size32 1
		.amdhsa_uses_dynamic_stack 0
		.amdhsa_system_sgpr_private_segment_wavefront_offset 0
		.amdhsa_system_sgpr_workgroup_id_x 1
		.amdhsa_system_sgpr_workgroup_id_y 0
		.amdhsa_system_sgpr_workgroup_id_z 0
		.amdhsa_system_sgpr_workgroup_info 0
		.amdhsa_system_vgpr_workitem_id 0
		.amdhsa_next_free_vgpr 26
		.amdhsa_next_free_sgpr 7
		.amdhsa_reserve_vcc 1
		.amdhsa_reserve_flat_scratch 0
		.amdhsa_float_round_mode_32 0
		.amdhsa_float_round_mode_16_64 0
		.amdhsa_float_denorm_mode_32 3
		.amdhsa_float_denorm_mode_16_64 3
		.amdhsa_dx10_clamp 1
		.amdhsa_ieee_mode 1
		.amdhsa_fp16_overflow 0
		.amdhsa_workgroup_processor_mode 1
		.amdhsa_memory_ordered 1
		.amdhsa_forward_progress 1
		.amdhsa_shared_vgpr_count 0
		.amdhsa_exception_fp_ieee_invalid_op 0
		.amdhsa_exception_fp_denorm_src 0
		.amdhsa_exception_fp_ieee_div_zero 0
		.amdhsa_exception_fp_ieee_overflow 0
		.amdhsa_exception_fp_ieee_underflow 0
		.amdhsa_exception_fp_ieee_inexact 0
		.amdhsa_exception_int_div_zero 0
	.end_amdhsa_kernel
	.section	.text._Z17warp_store_kernelILj256ELj64ELj32ELN6hipcub18WarpStoreAlgorithmE2EdEvPT3_,"axG",@progbits,_Z17warp_store_kernelILj256ELj64ELj32ELN6hipcub18WarpStoreAlgorithmE2EdEvPT3_,comdat
.Lfunc_end36:
	.size	_Z17warp_store_kernelILj256ELj64ELj32ELN6hipcub18WarpStoreAlgorithmE2EdEvPT3_, .Lfunc_end36-_Z17warp_store_kernelILj256ELj64ELj32ELN6hipcub18WarpStoreAlgorithmE2EdEvPT3_
                                        ; -- End function
	.set _Z17warp_store_kernelILj256ELj64ELj32ELN6hipcub18WarpStoreAlgorithmE2EdEvPT3_.num_vgpr, 26
	.set _Z17warp_store_kernelILj256ELj64ELj32ELN6hipcub18WarpStoreAlgorithmE2EdEvPT3_.num_agpr, 0
	.set _Z17warp_store_kernelILj256ELj64ELj32ELN6hipcub18WarpStoreAlgorithmE2EdEvPT3_.numbered_sgpr, 7
	.set _Z17warp_store_kernelILj256ELj64ELj32ELN6hipcub18WarpStoreAlgorithmE2EdEvPT3_.num_named_barrier, 0
	.set _Z17warp_store_kernelILj256ELj64ELj32ELN6hipcub18WarpStoreAlgorithmE2EdEvPT3_.private_seg_size, 0
	.set _Z17warp_store_kernelILj256ELj64ELj32ELN6hipcub18WarpStoreAlgorithmE2EdEvPT3_.uses_vcc, 1
	.set _Z17warp_store_kernelILj256ELj64ELj32ELN6hipcub18WarpStoreAlgorithmE2EdEvPT3_.uses_flat_scratch, 0
	.set _Z17warp_store_kernelILj256ELj64ELj32ELN6hipcub18WarpStoreAlgorithmE2EdEvPT3_.has_dyn_sized_stack, 0
	.set _Z17warp_store_kernelILj256ELj64ELj32ELN6hipcub18WarpStoreAlgorithmE2EdEvPT3_.has_recursion, 0
	.set _Z17warp_store_kernelILj256ELj64ELj32ELN6hipcub18WarpStoreAlgorithmE2EdEvPT3_.has_indirect_call, 0
	.section	.AMDGPU.csdata,"",@progbits
; Kernel info:
; codeLenInByte = 896
; TotalNumSgprs: 9
; NumVgprs: 26
; ScratchSize: 0
; MemoryBound: 1
; FloatMode: 240
; IeeeMode: 1
; LDSByteSize: 0 bytes/workgroup (compile time only)
; SGPRBlocks: 0
; VGPRBlocks: 3
; NumSGPRsForWavesPerEU: 9
; NumVGPRsForWavesPerEU: 26
; Occupancy: 16
; WaveLimiterHint : 1
; COMPUTE_PGM_RSRC2:SCRATCH_EN: 0
; COMPUTE_PGM_RSRC2:USER_SGPR: 6
; COMPUTE_PGM_RSRC2:TRAP_HANDLER: 0
; COMPUTE_PGM_RSRC2:TGID_X_EN: 1
; COMPUTE_PGM_RSRC2:TGID_Y_EN: 0
; COMPUTE_PGM_RSRC2:TGID_Z_EN: 0
; COMPUTE_PGM_RSRC2:TIDIG_COMP_CNT: 0
	.section	.text._Z17warp_store_kernelILj256ELj4ELj64ELN6hipcub18WarpStoreAlgorithmE0EiEvPT3_,"axG",@progbits,_Z17warp_store_kernelILj256ELj4ELj64ELN6hipcub18WarpStoreAlgorithmE0EiEvPT3_,comdat
	.protected	_Z17warp_store_kernelILj256ELj4ELj64ELN6hipcub18WarpStoreAlgorithmE0EiEvPT3_ ; -- Begin function _Z17warp_store_kernelILj256ELj4ELj64ELN6hipcub18WarpStoreAlgorithmE0EiEvPT3_
	.globl	_Z17warp_store_kernelILj256ELj4ELj64ELN6hipcub18WarpStoreAlgorithmE0EiEvPT3_
	.p2align	8
	.type	_Z17warp_store_kernelILj256ELj4ELj64ELN6hipcub18WarpStoreAlgorithmE0EiEvPT3_,@function
_Z17warp_store_kernelILj256ELj4ELj64ELN6hipcub18WarpStoreAlgorithmE0EiEvPT3_: ; @_Z17warp_store_kernelILj256ELj4ELj64ELN6hipcub18WarpStoreAlgorithmE0EiEvPT3_
; %bb.0:
	s_load_dwordx2 s[0:1], s[4:5], 0x0
	v_lshlrev_b32_e32 v0, 2, v0
	s_lshl_b32 s2, s6, 10
	v_mov_b32_e32 v4, 0
	v_mov_b32_e32 v1, 1
	v_mov_b32_e32 v2, 2
	v_and_or_b32 v3, 0x300, v0, s2
	v_mbcnt_lo_u32_b32 v0, -1, 0
	v_lshlrev_b64 v[5:6], 2, v[3:4]
	v_lshlrev_b32_e32 v0, 4, v0
	v_mov_b32_e32 v3, 3
	s_waitcnt lgkmcnt(0)
	v_add_co_u32 v5, vcc_lo, s0, v5
	v_add_co_ci_u32_e64 v6, null, s1, v6, vcc_lo
	v_add_co_u32 v5, vcc_lo, v5, v0
	v_add_co_ci_u32_e64 v6, null, 0, v6, vcc_lo
	v_mov_b32_e32 v0, v4
	global_store_dwordx4 v[5:6], v[0:3], off
	s_endpgm
	.section	.rodata,"a",@progbits
	.p2align	6, 0x0
	.amdhsa_kernel _Z17warp_store_kernelILj256ELj4ELj64ELN6hipcub18WarpStoreAlgorithmE0EiEvPT3_
		.amdhsa_group_segment_fixed_size 0
		.amdhsa_private_segment_fixed_size 0
		.amdhsa_kernarg_size 8
		.amdhsa_user_sgpr_count 6
		.amdhsa_user_sgpr_private_segment_buffer 1
		.amdhsa_user_sgpr_dispatch_ptr 0
		.amdhsa_user_sgpr_queue_ptr 0
		.amdhsa_user_sgpr_kernarg_segment_ptr 1
		.amdhsa_user_sgpr_dispatch_id 0
		.amdhsa_user_sgpr_flat_scratch_init 0
		.amdhsa_user_sgpr_private_segment_size 0
		.amdhsa_wavefront_size32 1
		.amdhsa_uses_dynamic_stack 0
		.amdhsa_system_sgpr_private_segment_wavefront_offset 0
		.amdhsa_system_sgpr_workgroup_id_x 1
		.amdhsa_system_sgpr_workgroup_id_y 0
		.amdhsa_system_sgpr_workgroup_id_z 0
		.amdhsa_system_sgpr_workgroup_info 0
		.amdhsa_system_vgpr_workitem_id 0
		.amdhsa_next_free_vgpr 7
		.amdhsa_next_free_sgpr 7
		.amdhsa_reserve_vcc 1
		.amdhsa_reserve_flat_scratch 0
		.amdhsa_float_round_mode_32 0
		.amdhsa_float_round_mode_16_64 0
		.amdhsa_float_denorm_mode_32 3
		.amdhsa_float_denorm_mode_16_64 3
		.amdhsa_dx10_clamp 1
		.amdhsa_ieee_mode 1
		.amdhsa_fp16_overflow 0
		.amdhsa_workgroup_processor_mode 1
		.amdhsa_memory_ordered 1
		.amdhsa_forward_progress 1
		.amdhsa_shared_vgpr_count 0
		.amdhsa_exception_fp_ieee_invalid_op 0
		.amdhsa_exception_fp_denorm_src 0
		.amdhsa_exception_fp_ieee_div_zero 0
		.amdhsa_exception_fp_ieee_overflow 0
		.amdhsa_exception_fp_ieee_underflow 0
		.amdhsa_exception_fp_ieee_inexact 0
		.amdhsa_exception_int_div_zero 0
	.end_amdhsa_kernel
	.section	.text._Z17warp_store_kernelILj256ELj4ELj64ELN6hipcub18WarpStoreAlgorithmE0EiEvPT3_,"axG",@progbits,_Z17warp_store_kernelILj256ELj4ELj64ELN6hipcub18WarpStoreAlgorithmE0EiEvPT3_,comdat
.Lfunc_end37:
	.size	_Z17warp_store_kernelILj256ELj4ELj64ELN6hipcub18WarpStoreAlgorithmE0EiEvPT3_, .Lfunc_end37-_Z17warp_store_kernelILj256ELj4ELj64ELN6hipcub18WarpStoreAlgorithmE0EiEvPT3_
                                        ; -- End function
	.set _Z17warp_store_kernelILj256ELj4ELj64ELN6hipcub18WarpStoreAlgorithmE0EiEvPT3_.num_vgpr, 7
	.set _Z17warp_store_kernelILj256ELj4ELj64ELN6hipcub18WarpStoreAlgorithmE0EiEvPT3_.num_agpr, 0
	.set _Z17warp_store_kernelILj256ELj4ELj64ELN6hipcub18WarpStoreAlgorithmE0EiEvPT3_.numbered_sgpr, 7
	.set _Z17warp_store_kernelILj256ELj4ELj64ELN6hipcub18WarpStoreAlgorithmE0EiEvPT3_.num_named_barrier, 0
	.set _Z17warp_store_kernelILj256ELj4ELj64ELN6hipcub18WarpStoreAlgorithmE0EiEvPT3_.private_seg_size, 0
	.set _Z17warp_store_kernelILj256ELj4ELj64ELN6hipcub18WarpStoreAlgorithmE0EiEvPT3_.uses_vcc, 1
	.set _Z17warp_store_kernelILj256ELj4ELj64ELN6hipcub18WarpStoreAlgorithmE0EiEvPT3_.uses_flat_scratch, 0
	.set _Z17warp_store_kernelILj256ELj4ELj64ELN6hipcub18WarpStoreAlgorithmE0EiEvPT3_.has_dyn_sized_stack, 0
	.set _Z17warp_store_kernelILj256ELj4ELj64ELN6hipcub18WarpStoreAlgorithmE0EiEvPT3_.has_recursion, 0
	.set _Z17warp_store_kernelILj256ELj4ELj64ELN6hipcub18WarpStoreAlgorithmE0EiEvPT3_.has_indirect_call, 0
	.section	.AMDGPU.csdata,"",@progbits
; Kernel info:
; codeLenInByte = 116
; TotalNumSgprs: 9
; NumVgprs: 7
; ScratchSize: 0
; MemoryBound: 0
; FloatMode: 240
; IeeeMode: 1
; LDSByteSize: 0 bytes/workgroup (compile time only)
; SGPRBlocks: 0
; VGPRBlocks: 0
; NumSGPRsForWavesPerEU: 9
; NumVGPRsForWavesPerEU: 7
; Occupancy: 16
; WaveLimiterHint : 0
; COMPUTE_PGM_RSRC2:SCRATCH_EN: 0
; COMPUTE_PGM_RSRC2:USER_SGPR: 6
; COMPUTE_PGM_RSRC2:TRAP_HANDLER: 0
; COMPUTE_PGM_RSRC2:TGID_X_EN: 1
; COMPUTE_PGM_RSRC2:TGID_Y_EN: 0
; COMPUTE_PGM_RSRC2:TGID_Z_EN: 0
; COMPUTE_PGM_RSRC2:TIDIG_COMP_CNT: 0
	.section	.text._Z17warp_store_kernelILj256ELj4ELj64ELN6hipcub18WarpStoreAlgorithmE1EiEvPT3_,"axG",@progbits,_Z17warp_store_kernelILj256ELj4ELj64ELN6hipcub18WarpStoreAlgorithmE1EiEvPT3_,comdat
	.protected	_Z17warp_store_kernelILj256ELj4ELj64ELN6hipcub18WarpStoreAlgorithmE1EiEvPT3_ ; -- Begin function _Z17warp_store_kernelILj256ELj4ELj64ELN6hipcub18WarpStoreAlgorithmE1EiEvPT3_
	.globl	_Z17warp_store_kernelILj256ELj4ELj64ELN6hipcub18WarpStoreAlgorithmE1EiEvPT3_
	.p2align	8
	.type	_Z17warp_store_kernelILj256ELj4ELj64ELN6hipcub18WarpStoreAlgorithmE1EiEvPT3_,@function
_Z17warp_store_kernelILj256ELj4ELj64ELN6hipcub18WarpStoreAlgorithmE1EiEvPT3_: ; @_Z17warp_store_kernelILj256ELj4ELj64ELN6hipcub18WarpStoreAlgorithmE1EiEvPT3_
; %bb.0:
	s_load_dwordx2 s[0:1], s[4:5], 0x0
	v_lshlrev_b32_e32 v0, 2, v0
	s_lshl_b32 s2, s6, 10
	v_mov_b32_e32 v1, 0
	v_mbcnt_lo_u32_b32 v4, -1, 0
	v_mov_b32_e32 v5, 3
	v_and_or_b32 v0, 0x300, v0, s2
	v_lshlrev_b64 v[2:3], 2, v[0:1]
	v_lshlrev_b32_e32 v0, 2, v4
	v_mov_b32_e32 v4, 2
	s_waitcnt lgkmcnt(0)
	v_add_co_u32 v2, vcc_lo, s0, v2
	v_add_co_ci_u32_e64 v3, null, s1, v3, vcc_lo
	v_add_co_u32 v2, vcc_lo, v2, v0
	v_add_co_ci_u32_e64 v3, null, 0, v3, vcc_lo
	v_mov_b32_e32 v0, 1
	global_store_dword v[2:3], v1, off
	global_store_dword v[2:3], v0, off offset:256
	global_store_dword v[2:3], v4, off offset:512
	;; [unrolled: 1-line block ×3, first 2 shown]
	s_endpgm
	.section	.rodata,"a",@progbits
	.p2align	6, 0x0
	.amdhsa_kernel _Z17warp_store_kernelILj256ELj4ELj64ELN6hipcub18WarpStoreAlgorithmE1EiEvPT3_
		.amdhsa_group_segment_fixed_size 0
		.amdhsa_private_segment_fixed_size 0
		.amdhsa_kernarg_size 8
		.amdhsa_user_sgpr_count 6
		.amdhsa_user_sgpr_private_segment_buffer 1
		.amdhsa_user_sgpr_dispatch_ptr 0
		.amdhsa_user_sgpr_queue_ptr 0
		.amdhsa_user_sgpr_kernarg_segment_ptr 1
		.amdhsa_user_sgpr_dispatch_id 0
		.amdhsa_user_sgpr_flat_scratch_init 0
		.amdhsa_user_sgpr_private_segment_size 0
		.amdhsa_wavefront_size32 1
		.amdhsa_uses_dynamic_stack 0
		.amdhsa_system_sgpr_private_segment_wavefront_offset 0
		.amdhsa_system_sgpr_workgroup_id_x 1
		.amdhsa_system_sgpr_workgroup_id_y 0
		.amdhsa_system_sgpr_workgroup_id_z 0
		.amdhsa_system_sgpr_workgroup_info 0
		.amdhsa_system_vgpr_workitem_id 0
		.amdhsa_next_free_vgpr 6
		.amdhsa_next_free_sgpr 7
		.amdhsa_reserve_vcc 1
		.amdhsa_reserve_flat_scratch 0
		.amdhsa_float_round_mode_32 0
		.amdhsa_float_round_mode_16_64 0
		.amdhsa_float_denorm_mode_32 3
		.amdhsa_float_denorm_mode_16_64 3
		.amdhsa_dx10_clamp 1
		.amdhsa_ieee_mode 1
		.amdhsa_fp16_overflow 0
		.amdhsa_workgroup_processor_mode 1
		.amdhsa_memory_ordered 1
		.amdhsa_forward_progress 1
		.amdhsa_shared_vgpr_count 0
		.amdhsa_exception_fp_ieee_invalid_op 0
		.amdhsa_exception_fp_denorm_src 0
		.amdhsa_exception_fp_ieee_div_zero 0
		.amdhsa_exception_fp_ieee_overflow 0
		.amdhsa_exception_fp_ieee_underflow 0
		.amdhsa_exception_fp_ieee_inexact 0
		.amdhsa_exception_int_div_zero 0
	.end_amdhsa_kernel
	.section	.text._Z17warp_store_kernelILj256ELj4ELj64ELN6hipcub18WarpStoreAlgorithmE1EiEvPT3_,"axG",@progbits,_Z17warp_store_kernelILj256ELj4ELj64ELN6hipcub18WarpStoreAlgorithmE1EiEvPT3_,comdat
.Lfunc_end38:
	.size	_Z17warp_store_kernelILj256ELj4ELj64ELN6hipcub18WarpStoreAlgorithmE1EiEvPT3_, .Lfunc_end38-_Z17warp_store_kernelILj256ELj4ELj64ELN6hipcub18WarpStoreAlgorithmE1EiEvPT3_
                                        ; -- End function
	.set _Z17warp_store_kernelILj256ELj4ELj64ELN6hipcub18WarpStoreAlgorithmE1EiEvPT3_.num_vgpr, 6
	.set _Z17warp_store_kernelILj256ELj4ELj64ELN6hipcub18WarpStoreAlgorithmE1EiEvPT3_.num_agpr, 0
	.set _Z17warp_store_kernelILj256ELj4ELj64ELN6hipcub18WarpStoreAlgorithmE1EiEvPT3_.numbered_sgpr, 7
	.set _Z17warp_store_kernelILj256ELj4ELj64ELN6hipcub18WarpStoreAlgorithmE1EiEvPT3_.num_named_barrier, 0
	.set _Z17warp_store_kernelILj256ELj4ELj64ELN6hipcub18WarpStoreAlgorithmE1EiEvPT3_.private_seg_size, 0
	.set _Z17warp_store_kernelILj256ELj4ELj64ELN6hipcub18WarpStoreAlgorithmE1EiEvPT3_.uses_vcc, 1
	.set _Z17warp_store_kernelILj256ELj4ELj64ELN6hipcub18WarpStoreAlgorithmE1EiEvPT3_.uses_flat_scratch, 0
	.set _Z17warp_store_kernelILj256ELj4ELj64ELN6hipcub18WarpStoreAlgorithmE1EiEvPT3_.has_dyn_sized_stack, 0
	.set _Z17warp_store_kernelILj256ELj4ELj64ELN6hipcub18WarpStoreAlgorithmE1EiEvPT3_.has_recursion, 0
	.set _Z17warp_store_kernelILj256ELj4ELj64ELN6hipcub18WarpStoreAlgorithmE1EiEvPT3_.has_indirect_call, 0
	.section	.AMDGPU.csdata,"",@progbits
; Kernel info:
; codeLenInByte = 136
; TotalNumSgprs: 9
; NumVgprs: 6
; ScratchSize: 0
; MemoryBound: 0
; FloatMode: 240
; IeeeMode: 1
; LDSByteSize: 0 bytes/workgroup (compile time only)
; SGPRBlocks: 0
; VGPRBlocks: 0
; NumSGPRsForWavesPerEU: 9
; NumVGPRsForWavesPerEU: 6
; Occupancy: 16
; WaveLimiterHint : 1
; COMPUTE_PGM_RSRC2:SCRATCH_EN: 0
; COMPUTE_PGM_RSRC2:USER_SGPR: 6
; COMPUTE_PGM_RSRC2:TRAP_HANDLER: 0
; COMPUTE_PGM_RSRC2:TGID_X_EN: 1
; COMPUTE_PGM_RSRC2:TGID_Y_EN: 0
; COMPUTE_PGM_RSRC2:TGID_Z_EN: 0
; COMPUTE_PGM_RSRC2:TIDIG_COMP_CNT: 0
	.section	.text._Z17warp_store_kernelILj256ELj4ELj64ELN6hipcub18WarpStoreAlgorithmE2EiEvPT3_,"axG",@progbits,_Z17warp_store_kernelILj256ELj4ELj64ELN6hipcub18WarpStoreAlgorithmE2EiEvPT3_,comdat
	.protected	_Z17warp_store_kernelILj256ELj4ELj64ELN6hipcub18WarpStoreAlgorithmE2EiEvPT3_ ; -- Begin function _Z17warp_store_kernelILj256ELj4ELj64ELN6hipcub18WarpStoreAlgorithmE2EiEvPT3_
	.globl	_Z17warp_store_kernelILj256ELj4ELj64ELN6hipcub18WarpStoreAlgorithmE2EiEvPT3_
	.p2align	8
	.type	_Z17warp_store_kernelILj256ELj4ELj64ELN6hipcub18WarpStoreAlgorithmE2EiEvPT3_,@function
_Z17warp_store_kernelILj256ELj4ELj64ELN6hipcub18WarpStoreAlgorithmE2EiEvPT3_: ; @_Z17warp_store_kernelILj256ELj4ELj64ELN6hipcub18WarpStoreAlgorithmE2EiEvPT3_
; %bb.0:
	s_load_dwordx2 s[0:1], s[4:5], 0x0
	v_lshlrev_b32_e32 v0, 2, v0
	s_lshl_b32 s2, s6, 10
	v_mov_b32_e32 v4, 0
	v_mov_b32_e32 v1, 1
	v_mov_b32_e32 v2, 2
	v_and_or_b32 v3, 0x300, v0, s2
	v_mbcnt_lo_u32_b32 v0, -1, 0
	v_lshlrev_b64 v[5:6], 2, v[3:4]
	v_lshlrev_b32_e32 v0, 4, v0
	v_mov_b32_e32 v3, 3
	s_waitcnt lgkmcnt(0)
	v_add_co_u32 v5, vcc_lo, s0, v5
	v_add_co_ci_u32_e64 v6, null, s1, v6, vcc_lo
	v_add_co_u32 v5, vcc_lo, v5, v0
	v_add_co_ci_u32_e64 v6, null, 0, v6, vcc_lo
	v_mov_b32_e32 v0, v4
	global_store_dwordx4 v[5:6], v[0:3], off
	s_endpgm
	.section	.rodata,"a",@progbits
	.p2align	6, 0x0
	.amdhsa_kernel _Z17warp_store_kernelILj256ELj4ELj64ELN6hipcub18WarpStoreAlgorithmE2EiEvPT3_
		.amdhsa_group_segment_fixed_size 0
		.amdhsa_private_segment_fixed_size 0
		.amdhsa_kernarg_size 8
		.amdhsa_user_sgpr_count 6
		.amdhsa_user_sgpr_private_segment_buffer 1
		.amdhsa_user_sgpr_dispatch_ptr 0
		.amdhsa_user_sgpr_queue_ptr 0
		.amdhsa_user_sgpr_kernarg_segment_ptr 1
		.amdhsa_user_sgpr_dispatch_id 0
		.amdhsa_user_sgpr_flat_scratch_init 0
		.amdhsa_user_sgpr_private_segment_size 0
		.amdhsa_wavefront_size32 1
		.amdhsa_uses_dynamic_stack 0
		.amdhsa_system_sgpr_private_segment_wavefront_offset 0
		.amdhsa_system_sgpr_workgroup_id_x 1
		.amdhsa_system_sgpr_workgroup_id_y 0
		.amdhsa_system_sgpr_workgroup_id_z 0
		.amdhsa_system_sgpr_workgroup_info 0
		.amdhsa_system_vgpr_workitem_id 0
		.amdhsa_next_free_vgpr 7
		.amdhsa_next_free_sgpr 7
		.amdhsa_reserve_vcc 1
		.amdhsa_reserve_flat_scratch 0
		.amdhsa_float_round_mode_32 0
		.amdhsa_float_round_mode_16_64 0
		.amdhsa_float_denorm_mode_32 3
		.amdhsa_float_denorm_mode_16_64 3
		.amdhsa_dx10_clamp 1
		.amdhsa_ieee_mode 1
		.amdhsa_fp16_overflow 0
		.amdhsa_workgroup_processor_mode 1
		.amdhsa_memory_ordered 1
		.amdhsa_forward_progress 1
		.amdhsa_shared_vgpr_count 0
		.amdhsa_exception_fp_ieee_invalid_op 0
		.amdhsa_exception_fp_denorm_src 0
		.amdhsa_exception_fp_ieee_div_zero 0
		.amdhsa_exception_fp_ieee_overflow 0
		.amdhsa_exception_fp_ieee_underflow 0
		.amdhsa_exception_fp_ieee_inexact 0
		.amdhsa_exception_int_div_zero 0
	.end_amdhsa_kernel
	.section	.text._Z17warp_store_kernelILj256ELj4ELj64ELN6hipcub18WarpStoreAlgorithmE2EiEvPT3_,"axG",@progbits,_Z17warp_store_kernelILj256ELj4ELj64ELN6hipcub18WarpStoreAlgorithmE2EiEvPT3_,comdat
.Lfunc_end39:
	.size	_Z17warp_store_kernelILj256ELj4ELj64ELN6hipcub18WarpStoreAlgorithmE2EiEvPT3_, .Lfunc_end39-_Z17warp_store_kernelILj256ELj4ELj64ELN6hipcub18WarpStoreAlgorithmE2EiEvPT3_
                                        ; -- End function
	.set _Z17warp_store_kernelILj256ELj4ELj64ELN6hipcub18WarpStoreAlgorithmE2EiEvPT3_.num_vgpr, 7
	.set _Z17warp_store_kernelILj256ELj4ELj64ELN6hipcub18WarpStoreAlgorithmE2EiEvPT3_.num_agpr, 0
	.set _Z17warp_store_kernelILj256ELj4ELj64ELN6hipcub18WarpStoreAlgorithmE2EiEvPT3_.numbered_sgpr, 7
	.set _Z17warp_store_kernelILj256ELj4ELj64ELN6hipcub18WarpStoreAlgorithmE2EiEvPT3_.num_named_barrier, 0
	.set _Z17warp_store_kernelILj256ELj4ELj64ELN6hipcub18WarpStoreAlgorithmE2EiEvPT3_.private_seg_size, 0
	.set _Z17warp_store_kernelILj256ELj4ELj64ELN6hipcub18WarpStoreAlgorithmE2EiEvPT3_.uses_vcc, 1
	.set _Z17warp_store_kernelILj256ELj4ELj64ELN6hipcub18WarpStoreAlgorithmE2EiEvPT3_.uses_flat_scratch, 0
	.set _Z17warp_store_kernelILj256ELj4ELj64ELN6hipcub18WarpStoreAlgorithmE2EiEvPT3_.has_dyn_sized_stack, 0
	.set _Z17warp_store_kernelILj256ELj4ELj64ELN6hipcub18WarpStoreAlgorithmE2EiEvPT3_.has_recursion, 0
	.set _Z17warp_store_kernelILj256ELj4ELj64ELN6hipcub18WarpStoreAlgorithmE2EiEvPT3_.has_indirect_call, 0
	.section	.AMDGPU.csdata,"",@progbits
; Kernel info:
; codeLenInByte = 116
; TotalNumSgprs: 9
; NumVgprs: 7
; ScratchSize: 0
; MemoryBound: 0
; FloatMode: 240
; IeeeMode: 1
; LDSByteSize: 0 bytes/workgroup (compile time only)
; SGPRBlocks: 0
; VGPRBlocks: 0
; NumSGPRsForWavesPerEU: 9
; NumVGPRsForWavesPerEU: 7
; Occupancy: 16
; WaveLimiterHint : 0
; COMPUTE_PGM_RSRC2:SCRATCH_EN: 0
; COMPUTE_PGM_RSRC2:USER_SGPR: 6
; COMPUTE_PGM_RSRC2:TRAP_HANDLER: 0
; COMPUTE_PGM_RSRC2:TGID_X_EN: 1
; COMPUTE_PGM_RSRC2:TGID_Y_EN: 0
; COMPUTE_PGM_RSRC2:TGID_Z_EN: 0
; COMPUTE_PGM_RSRC2:TIDIG_COMP_CNT: 0
	.section	.text._Z17warp_store_kernelILj256ELj4ELj64ELN6hipcub18WarpStoreAlgorithmE3EiEvPT3_,"axG",@progbits,_Z17warp_store_kernelILj256ELj4ELj64ELN6hipcub18WarpStoreAlgorithmE3EiEvPT3_,comdat
	.protected	_Z17warp_store_kernelILj256ELj4ELj64ELN6hipcub18WarpStoreAlgorithmE3EiEvPT3_ ; -- Begin function _Z17warp_store_kernelILj256ELj4ELj64ELN6hipcub18WarpStoreAlgorithmE3EiEvPT3_
	.globl	_Z17warp_store_kernelILj256ELj4ELj64ELN6hipcub18WarpStoreAlgorithmE3EiEvPT3_
	.p2align	8
	.type	_Z17warp_store_kernelILj256ELj4ELj64ELN6hipcub18WarpStoreAlgorithmE3EiEvPT3_,@function
_Z17warp_store_kernelILj256ELj4ELj64ELN6hipcub18WarpStoreAlgorithmE3EiEvPT3_: ; @_Z17warp_store_kernelILj256ELj4ELj64ELN6hipcub18WarpStoreAlgorithmE3EiEvPT3_
; %bb.0:
	v_lshrrev_b32_e32 v4, 6, v0
	v_mbcnt_lo_u32_b32 v6, -1, 0
	s_load_dwordx2 s[0:1], s[4:5], 0x0
	v_mov_b32_e32 v5, 0
	v_mov_b32_e32 v1, 1
	v_lshlrev_b32_e32 v7, 10, v4
	v_lshlrev_b32_e32 v8, 2, v6
	v_mov_b32_e32 v2, 2
	v_mov_b32_e32 v3, 3
	;; [unrolled: 1-line block ×3, first 2 shown]
	v_lshl_or_b32 v6, v6, 4, v7
	s_lshl_b32 s2, s6, 10
	v_or_b32_e32 v7, v7, v8
	v_lshl_or_b32 v4, v4, 8, s2
	ds_write_b128 v6, v[0:3]
	; wave barrier
	ds_read2st64_b32 v[0:1], v7 offset1:1
	ds_read2st64_b32 v[2:3], v7 offset0:2 offset1:3
	v_lshlrev_b64 v[4:5], 2, v[4:5]
	s_waitcnt lgkmcnt(0)
	v_add_co_u32 v4, vcc_lo, s0, v4
	v_add_co_ci_u32_e64 v5, null, s1, v5, vcc_lo
	v_add_co_u32 v4, vcc_lo, v4, v8
	v_add_co_ci_u32_e64 v5, null, 0, v5, vcc_lo
	global_store_dword v[4:5], v0, off
	global_store_dword v[4:5], v1, off offset:256
	global_store_dword v[4:5], v2, off offset:512
	;; [unrolled: 1-line block ×3, first 2 shown]
	s_endpgm
	.section	.rodata,"a",@progbits
	.p2align	6, 0x0
	.amdhsa_kernel _Z17warp_store_kernelILj256ELj4ELj64ELN6hipcub18WarpStoreAlgorithmE3EiEvPT3_
		.amdhsa_group_segment_fixed_size 4096
		.amdhsa_private_segment_fixed_size 0
		.amdhsa_kernarg_size 8
		.amdhsa_user_sgpr_count 6
		.amdhsa_user_sgpr_private_segment_buffer 1
		.amdhsa_user_sgpr_dispatch_ptr 0
		.amdhsa_user_sgpr_queue_ptr 0
		.amdhsa_user_sgpr_kernarg_segment_ptr 1
		.amdhsa_user_sgpr_dispatch_id 0
		.amdhsa_user_sgpr_flat_scratch_init 0
		.amdhsa_user_sgpr_private_segment_size 0
		.amdhsa_wavefront_size32 1
		.amdhsa_uses_dynamic_stack 0
		.amdhsa_system_sgpr_private_segment_wavefront_offset 0
		.amdhsa_system_sgpr_workgroup_id_x 1
		.amdhsa_system_sgpr_workgroup_id_y 0
		.amdhsa_system_sgpr_workgroup_id_z 0
		.amdhsa_system_sgpr_workgroup_info 0
		.amdhsa_system_vgpr_workitem_id 0
		.amdhsa_next_free_vgpr 9
		.amdhsa_next_free_sgpr 7
		.amdhsa_reserve_vcc 1
		.amdhsa_reserve_flat_scratch 0
		.amdhsa_float_round_mode_32 0
		.amdhsa_float_round_mode_16_64 0
		.amdhsa_float_denorm_mode_32 3
		.amdhsa_float_denorm_mode_16_64 3
		.amdhsa_dx10_clamp 1
		.amdhsa_ieee_mode 1
		.amdhsa_fp16_overflow 0
		.amdhsa_workgroup_processor_mode 1
		.amdhsa_memory_ordered 1
		.amdhsa_forward_progress 1
		.amdhsa_shared_vgpr_count 0
		.amdhsa_exception_fp_ieee_invalid_op 0
		.amdhsa_exception_fp_denorm_src 0
		.amdhsa_exception_fp_ieee_div_zero 0
		.amdhsa_exception_fp_ieee_overflow 0
		.amdhsa_exception_fp_ieee_underflow 0
		.amdhsa_exception_fp_ieee_inexact 0
		.amdhsa_exception_int_div_zero 0
	.end_amdhsa_kernel
	.section	.text._Z17warp_store_kernelILj256ELj4ELj64ELN6hipcub18WarpStoreAlgorithmE3EiEvPT3_,"axG",@progbits,_Z17warp_store_kernelILj256ELj4ELj64ELN6hipcub18WarpStoreAlgorithmE3EiEvPT3_,comdat
.Lfunc_end40:
	.size	_Z17warp_store_kernelILj256ELj4ELj64ELN6hipcub18WarpStoreAlgorithmE3EiEvPT3_, .Lfunc_end40-_Z17warp_store_kernelILj256ELj4ELj64ELN6hipcub18WarpStoreAlgorithmE3EiEvPT3_
                                        ; -- End function
	.set _Z17warp_store_kernelILj256ELj4ELj64ELN6hipcub18WarpStoreAlgorithmE3EiEvPT3_.num_vgpr, 9
	.set _Z17warp_store_kernelILj256ELj4ELj64ELN6hipcub18WarpStoreAlgorithmE3EiEvPT3_.num_agpr, 0
	.set _Z17warp_store_kernelILj256ELj4ELj64ELN6hipcub18WarpStoreAlgorithmE3EiEvPT3_.numbered_sgpr, 7
	.set _Z17warp_store_kernelILj256ELj4ELj64ELN6hipcub18WarpStoreAlgorithmE3EiEvPT3_.num_named_barrier, 0
	.set _Z17warp_store_kernelILj256ELj4ELj64ELN6hipcub18WarpStoreAlgorithmE3EiEvPT3_.private_seg_size, 0
	.set _Z17warp_store_kernelILj256ELj4ELj64ELN6hipcub18WarpStoreAlgorithmE3EiEvPT3_.uses_vcc, 1
	.set _Z17warp_store_kernelILj256ELj4ELj64ELN6hipcub18WarpStoreAlgorithmE3EiEvPT3_.uses_flat_scratch, 0
	.set _Z17warp_store_kernelILj256ELj4ELj64ELN6hipcub18WarpStoreAlgorithmE3EiEvPT3_.has_dyn_sized_stack, 0
	.set _Z17warp_store_kernelILj256ELj4ELj64ELN6hipcub18WarpStoreAlgorithmE3EiEvPT3_.has_recursion, 0
	.set _Z17warp_store_kernelILj256ELj4ELj64ELN6hipcub18WarpStoreAlgorithmE3EiEvPT3_.has_indirect_call, 0
	.section	.AMDGPU.csdata,"",@progbits
; Kernel info:
; codeLenInByte = 176
; TotalNumSgprs: 9
; NumVgprs: 9
; ScratchSize: 0
; MemoryBound: 0
; FloatMode: 240
; IeeeMode: 1
; LDSByteSize: 4096 bytes/workgroup (compile time only)
; SGPRBlocks: 0
; VGPRBlocks: 1
; NumSGPRsForWavesPerEU: 9
; NumVGPRsForWavesPerEU: 9
; Occupancy: 16
; WaveLimiterHint : 1
; COMPUTE_PGM_RSRC2:SCRATCH_EN: 0
; COMPUTE_PGM_RSRC2:USER_SGPR: 6
; COMPUTE_PGM_RSRC2:TRAP_HANDLER: 0
; COMPUTE_PGM_RSRC2:TGID_X_EN: 1
; COMPUTE_PGM_RSRC2:TGID_Y_EN: 0
; COMPUTE_PGM_RSRC2:TGID_Z_EN: 0
; COMPUTE_PGM_RSRC2:TIDIG_COMP_CNT: 0
	.section	.text._Z17warp_store_kernelILj256ELj8ELj64ELN6hipcub18WarpStoreAlgorithmE0EiEvPT3_,"axG",@progbits,_Z17warp_store_kernelILj256ELj8ELj64ELN6hipcub18WarpStoreAlgorithmE0EiEvPT3_,comdat
	.protected	_Z17warp_store_kernelILj256ELj8ELj64ELN6hipcub18WarpStoreAlgorithmE0EiEvPT3_ ; -- Begin function _Z17warp_store_kernelILj256ELj8ELj64ELN6hipcub18WarpStoreAlgorithmE0EiEvPT3_
	.globl	_Z17warp_store_kernelILj256ELj8ELj64ELN6hipcub18WarpStoreAlgorithmE0EiEvPT3_
	.p2align	8
	.type	_Z17warp_store_kernelILj256ELj8ELj64ELN6hipcub18WarpStoreAlgorithmE0EiEvPT3_,@function
_Z17warp_store_kernelILj256ELj8ELj64ELN6hipcub18WarpStoreAlgorithmE0EiEvPT3_: ; @_Z17warp_store_kernelILj256ELj8ELj64ELN6hipcub18WarpStoreAlgorithmE0EiEvPT3_
; %bb.0:
	s_load_dwordx2 s[0:1], s[4:5], 0x0
	v_lshlrev_b32_e32 v0, 3, v0
	s_lshl_b32 s2, s6, 11
	v_mov_b32_e32 v7, 0
	v_mov_b32_e32 v1, 1
	;; [unrolled: 1-line block ×3, first 2 shown]
	v_and_or_b32 v6, 0x600, v0, s2
	v_mbcnt_lo_u32_b32 v0, -1, 0
	v_mov_b32_e32 v3, 3
	v_mov_b32_e32 v4, 4
	;; [unrolled: 1-line block ×3, first 2 shown]
	v_lshlrev_b64 v[8:9], 2, v[6:7]
	v_lshlrev_b32_e32 v10, 5, v0
	v_mov_b32_e32 v0, v7
	v_mov_b32_e32 v6, 6
	;; [unrolled: 1-line block ×3, first 2 shown]
	s_waitcnt lgkmcnt(0)
	v_add_co_u32 v8, vcc_lo, s0, v8
	v_add_co_ci_u32_e64 v9, null, s1, v9, vcc_lo
	v_add_co_u32 v8, vcc_lo, v8, v10
	v_add_co_ci_u32_e64 v9, null, 0, v9, vcc_lo
	global_store_dwordx4 v[8:9], v[0:3], off
	global_store_dwordx4 v[8:9], v[4:7], off offset:16
	s_endpgm
	.section	.rodata,"a",@progbits
	.p2align	6, 0x0
	.amdhsa_kernel _Z17warp_store_kernelILj256ELj8ELj64ELN6hipcub18WarpStoreAlgorithmE0EiEvPT3_
		.amdhsa_group_segment_fixed_size 0
		.amdhsa_private_segment_fixed_size 0
		.amdhsa_kernarg_size 8
		.amdhsa_user_sgpr_count 6
		.amdhsa_user_sgpr_private_segment_buffer 1
		.amdhsa_user_sgpr_dispatch_ptr 0
		.amdhsa_user_sgpr_queue_ptr 0
		.amdhsa_user_sgpr_kernarg_segment_ptr 1
		.amdhsa_user_sgpr_dispatch_id 0
		.amdhsa_user_sgpr_flat_scratch_init 0
		.amdhsa_user_sgpr_private_segment_size 0
		.amdhsa_wavefront_size32 1
		.amdhsa_uses_dynamic_stack 0
		.amdhsa_system_sgpr_private_segment_wavefront_offset 0
		.amdhsa_system_sgpr_workgroup_id_x 1
		.amdhsa_system_sgpr_workgroup_id_y 0
		.amdhsa_system_sgpr_workgroup_id_z 0
		.amdhsa_system_sgpr_workgroup_info 0
		.amdhsa_system_vgpr_workitem_id 0
		.amdhsa_next_free_vgpr 11
		.amdhsa_next_free_sgpr 7
		.amdhsa_reserve_vcc 1
		.amdhsa_reserve_flat_scratch 0
		.amdhsa_float_round_mode_32 0
		.amdhsa_float_round_mode_16_64 0
		.amdhsa_float_denorm_mode_32 3
		.amdhsa_float_denorm_mode_16_64 3
		.amdhsa_dx10_clamp 1
		.amdhsa_ieee_mode 1
		.amdhsa_fp16_overflow 0
		.amdhsa_workgroup_processor_mode 1
		.amdhsa_memory_ordered 1
		.amdhsa_forward_progress 1
		.amdhsa_shared_vgpr_count 0
		.amdhsa_exception_fp_ieee_invalid_op 0
		.amdhsa_exception_fp_denorm_src 0
		.amdhsa_exception_fp_ieee_div_zero 0
		.amdhsa_exception_fp_ieee_overflow 0
		.amdhsa_exception_fp_ieee_underflow 0
		.amdhsa_exception_fp_ieee_inexact 0
		.amdhsa_exception_int_div_zero 0
	.end_amdhsa_kernel
	.section	.text._Z17warp_store_kernelILj256ELj8ELj64ELN6hipcub18WarpStoreAlgorithmE0EiEvPT3_,"axG",@progbits,_Z17warp_store_kernelILj256ELj8ELj64ELN6hipcub18WarpStoreAlgorithmE0EiEvPT3_,comdat
.Lfunc_end41:
	.size	_Z17warp_store_kernelILj256ELj8ELj64ELN6hipcub18WarpStoreAlgorithmE0EiEvPT3_, .Lfunc_end41-_Z17warp_store_kernelILj256ELj8ELj64ELN6hipcub18WarpStoreAlgorithmE0EiEvPT3_
                                        ; -- End function
	.set _Z17warp_store_kernelILj256ELj8ELj64ELN6hipcub18WarpStoreAlgorithmE0EiEvPT3_.num_vgpr, 11
	.set _Z17warp_store_kernelILj256ELj8ELj64ELN6hipcub18WarpStoreAlgorithmE0EiEvPT3_.num_agpr, 0
	.set _Z17warp_store_kernelILj256ELj8ELj64ELN6hipcub18WarpStoreAlgorithmE0EiEvPT3_.numbered_sgpr, 7
	.set _Z17warp_store_kernelILj256ELj8ELj64ELN6hipcub18WarpStoreAlgorithmE0EiEvPT3_.num_named_barrier, 0
	.set _Z17warp_store_kernelILj256ELj8ELj64ELN6hipcub18WarpStoreAlgorithmE0EiEvPT3_.private_seg_size, 0
	.set _Z17warp_store_kernelILj256ELj8ELj64ELN6hipcub18WarpStoreAlgorithmE0EiEvPT3_.uses_vcc, 1
	.set _Z17warp_store_kernelILj256ELj8ELj64ELN6hipcub18WarpStoreAlgorithmE0EiEvPT3_.uses_flat_scratch, 0
	.set _Z17warp_store_kernelILj256ELj8ELj64ELN6hipcub18WarpStoreAlgorithmE0EiEvPT3_.has_dyn_sized_stack, 0
	.set _Z17warp_store_kernelILj256ELj8ELj64ELN6hipcub18WarpStoreAlgorithmE0EiEvPT3_.has_recursion, 0
	.set _Z17warp_store_kernelILj256ELj8ELj64ELN6hipcub18WarpStoreAlgorithmE0EiEvPT3_.has_indirect_call, 0
	.section	.AMDGPU.csdata,"",@progbits
; Kernel info:
; codeLenInByte = 140
; TotalNumSgprs: 9
; NumVgprs: 11
; ScratchSize: 0
; MemoryBound: 0
; FloatMode: 240
; IeeeMode: 1
; LDSByteSize: 0 bytes/workgroup (compile time only)
; SGPRBlocks: 0
; VGPRBlocks: 1
; NumSGPRsForWavesPerEU: 9
; NumVGPRsForWavesPerEU: 11
; Occupancy: 16
; WaveLimiterHint : 0
; COMPUTE_PGM_RSRC2:SCRATCH_EN: 0
; COMPUTE_PGM_RSRC2:USER_SGPR: 6
; COMPUTE_PGM_RSRC2:TRAP_HANDLER: 0
; COMPUTE_PGM_RSRC2:TGID_X_EN: 1
; COMPUTE_PGM_RSRC2:TGID_Y_EN: 0
; COMPUTE_PGM_RSRC2:TGID_Z_EN: 0
; COMPUTE_PGM_RSRC2:TIDIG_COMP_CNT: 0
	.section	.text._Z17warp_store_kernelILj256ELj8ELj64ELN6hipcub18WarpStoreAlgorithmE1EiEvPT3_,"axG",@progbits,_Z17warp_store_kernelILj256ELj8ELj64ELN6hipcub18WarpStoreAlgorithmE1EiEvPT3_,comdat
	.protected	_Z17warp_store_kernelILj256ELj8ELj64ELN6hipcub18WarpStoreAlgorithmE1EiEvPT3_ ; -- Begin function _Z17warp_store_kernelILj256ELj8ELj64ELN6hipcub18WarpStoreAlgorithmE1EiEvPT3_
	.globl	_Z17warp_store_kernelILj256ELj8ELj64ELN6hipcub18WarpStoreAlgorithmE1EiEvPT3_
	.p2align	8
	.type	_Z17warp_store_kernelILj256ELj8ELj64ELN6hipcub18WarpStoreAlgorithmE1EiEvPT3_,@function
_Z17warp_store_kernelILj256ELj8ELj64ELN6hipcub18WarpStoreAlgorithmE1EiEvPT3_: ; @_Z17warp_store_kernelILj256ELj8ELj64ELN6hipcub18WarpStoreAlgorithmE1EiEvPT3_
; %bb.0:
	s_load_dwordx2 s[0:1], s[4:5], 0x0
	v_lshlrev_b32_e32 v0, 3, v0
	s_lshl_b32 s2, s6, 11
	v_mov_b32_e32 v1, 0
	v_mbcnt_lo_u32_b32 v4, -1, 0
	v_mov_b32_e32 v6, 1
	v_and_or_b32 v0, 0x600, v0, s2
	v_mov_b32_e32 v5, 2
	v_mov_b32_e32 v7, 5
	v_lshlrev_b32_e32 v4, 2, v4
	v_mov_b32_e32 v8, 6
	v_lshlrev_b64 v[2:3], 2, v[0:1]
	v_mov_b32_e32 v0, 3
	v_mov_b32_e32 v9, 7
	s_waitcnt lgkmcnt(0)
	v_add_co_u32 v2, vcc_lo, s0, v2
	v_add_co_ci_u32_e64 v3, null, s1, v3, vcc_lo
	v_add_co_u32 v2, vcc_lo, v2, v4
	v_add_co_ci_u32_e64 v3, null, 0, v3, vcc_lo
	v_mov_b32_e32 v4, 4
	global_store_dword v[2:3], v1, off
	global_store_dword v[2:3], v6, off offset:256
	global_store_dword v[2:3], v5, off offset:512
	;; [unrolled: 1-line block ×7, first 2 shown]
	s_endpgm
	.section	.rodata,"a",@progbits
	.p2align	6, 0x0
	.amdhsa_kernel _Z17warp_store_kernelILj256ELj8ELj64ELN6hipcub18WarpStoreAlgorithmE1EiEvPT3_
		.amdhsa_group_segment_fixed_size 0
		.amdhsa_private_segment_fixed_size 0
		.amdhsa_kernarg_size 8
		.amdhsa_user_sgpr_count 6
		.amdhsa_user_sgpr_private_segment_buffer 1
		.amdhsa_user_sgpr_dispatch_ptr 0
		.amdhsa_user_sgpr_queue_ptr 0
		.amdhsa_user_sgpr_kernarg_segment_ptr 1
		.amdhsa_user_sgpr_dispatch_id 0
		.amdhsa_user_sgpr_flat_scratch_init 0
		.amdhsa_user_sgpr_private_segment_size 0
		.amdhsa_wavefront_size32 1
		.amdhsa_uses_dynamic_stack 0
		.amdhsa_system_sgpr_private_segment_wavefront_offset 0
		.amdhsa_system_sgpr_workgroup_id_x 1
		.amdhsa_system_sgpr_workgroup_id_y 0
		.amdhsa_system_sgpr_workgroup_id_z 0
		.amdhsa_system_sgpr_workgroup_info 0
		.amdhsa_system_vgpr_workitem_id 0
		.amdhsa_next_free_vgpr 10
		.amdhsa_next_free_sgpr 7
		.amdhsa_reserve_vcc 1
		.amdhsa_reserve_flat_scratch 0
		.amdhsa_float_round_mode_32 0
		.amdhsa_float_round_mode_16_64 0
		.amdhsa_float_denorm_mode_32 3
		.amdhsa_float_denorm_mode_16_64 3
		.amdhsa_dx10_clamp 1
		.amdhsa_ieee_mode 1
		.amdhsa_fp16_overflow 0
		.amdhsa_workgroup_processor_mode 1
		.amdhsa_memory_ordered 1
		.amdhsa_forward_progress 1
		.amdhsa_shared_vgpr_count 0
		.amdhsa_exception_fp_ieee_invalid_op 0
		.amdhsa_exception_fp_denorm_src 0
		.amdhsa_exception_fp_ieee_div_zero 0
		.amdhsa_exception_fp_ieee_overflow 0
		.amdhsa_exception_fp_ieee_underflow 0
		.amdhsa_exception_fp_ieee_inexact 0
		.amdhsa_exception_int_div_zero 0
	.end_amdhsa_kernel
	.section	.text._Z17warp_store_kernelILj256ELj8ELj64ELN6hipcub18WarpStoreAlgorithmE1EiEvPT3_,"axG",@progbits,_Z17warp_store_kernelILj256ELj8ELj64ELN6hipcub18WarpStoreAlgorithmE1EiEvPT3_,comdat
.Lfunc_end42:
	.size	_Z17warp_store_kernelILj256ELj8ELj64ELN6hipcub18WarpStoreAlgorithmE1EiEvPT3_, .Lfunc_end42-_Z17warp_store_kernelILj256ELj8ELj64ELN6hipcub18WarpStoreAlgorithmE1EiEvPT3_
                                        ; -- End function
	.set _Z17warp_store_kernelILj256ELj8ELj64ELN6hipcub18WarpStoreAlgorithmE1EiEvPT3_.num_vgpr, 10
	.set _Z17warp_store_kernelILj256ELj8ELj64ELN6hipcub18WarpStoreAlgorithmE1EiEvPT3_.num_agpr, 0
	.set _Z17warp_store_kernelILj256ELj8ELj64ELN6hipcub18WarpStoreAlgorithmE1EiEvPT3_.numbered_sgpr, 7
	.set _Z17warp_store_kernelILj256ELj8ELj64ELN6hipcub18WarpStoreAlgorithmE1EiEvPT3_.num_named_barrier, 0
	.set _Z17warp_store_kernelILj256ELj8ELj64ELN6hipcub18WarpStoreAlgorithmE1EiEvPT3_.private_seg_size, 0
	.set _Z17warp_store_kernelILj256ELj8ELj64ELN6hipcub18WarpStoreAlgorithmE1EiEvPT3_.uses_vcc, 1
	.set _Z17warp_store_kernelILj256ELj8ELj64ELN6hipcub18WarpStoreAlgorithmE1EiEvPT3_.uses_flat_scratch, 0
	.set _Z17warp_store_kernelILj256ELj8ELj64ELN6hipcub18WarpStoreAlgorithmE1EiEvPT3_.has_dyn_sized_stack, 0
	.set _Z17warp_store_kernelILj256ELj8ELj64ELN6hipcub18WarpStoreAlgorithmE1EiEvPT3_.has_recursion, 0
	.set _Z17warp_store_kernelILj256ELj8ELj64ELN6hipcub18WarpStoreAlgorithmE1EiEvPT3_.has_indirect_call, 0
	.section	.AMDGPU.csdata,"",@progbits
; Kernel info:
; codeLenInByte = 184
; TotalNumSgprs: 9
; NumVgprs: 10
; ScratchSize: 0
; MemoryBound: 0
; FloatMode: 240
; IeeeMode: 1
; LDSByteSize: 0 bytes/workgroup (compile time only)
; SGPRBlocks: 0
; VGPRBlocks: 1
; NumSGPRsForWavesPerEU: 9
; NumVGPRsForWavesPerEU: 10
; Occupancy: 16
; WaveLimiterHint : 1
; COMPUTE_PGM_RSRC2:SCRATCH_EN: 0
; COMPUTE_PGM_RSRC2:USER_SGPR: 6
; COMPUTE_PGM_RSRC2:TRAP_HANDLER: 0
; COMPUTE_PGM_RSRC2:TGID_X_EN: 1
; COMPUTE_PGM_RSRC2:TGID_Y_EN: 0
; COMPUTE_PGM_RSRC2:TGID_Z_EN: 0
; COMPUTE_PGM_RSRC2:TIDIG_COMP_CNT: 0
	.section	.text._Z17warp_store_kernelILj256ELj8ELj64ELN6hipcub18WarpStoreAlgorithmE2EiEvPT3_,"axG",@progbits,_Z17warp_store_kernelILj256ELj8ELj64ELN6hipcub18WarpStoreAlgorithmE2EiEvPT3_,comdat
	.protected	_Z17warp_store_kernelILj256ELj8ELj64ELN6hipcub18WarpStoreAlgorithmE2EiEvPT3_ ; -- Begin function _Z17warp_store_kernelILj256ELj8ELj64ELN6hipcub18WarpStoreAlgorithmE2EiEvPT3_
	.globl	_Z17warp_store_kernelILj256ELj8ELj64ELN6hipcub18WarpStoreAlgorithmE2EiEvPT3_
	.p2align	8
	.type	_Z17warp_store_kernelILj256ELj8ELj64ELN6hipcub18WarpStoreAlgorithmE2EiEvPT3_,@function
_Z17warp_store_kernelILj256ELj8ELj64ELN6hipcub18WarpStoreAlgorithmE2EiEvPT3_: ; @_Z17warp_store_kernelILj256ELj8ELj64ELN6hipcub18WarpStoreAlgorithmE2EiEvPT3_
; %bb.0:
	s_load_dwordx2 s[0:1], s[4:5], 0x0
	v_lshlrev_b32_e32 v0, 3, v0
	s_lshl_b32 s2, s6, 11
	v_mov_b32_e32 v7, 0
	v_mov_b32_e32 v1, 1
	;; [unrolled: 1-line block ×3, first 2 shown]
	v_and_or_b32 v6, 0x600, v0, s2
	v_mbcnt_lo_u32_b32 v0, -1, 0
	v_mov_b32_e32 v3, 3
	v_mov_b32_e32 v4, 4
	;; [unrolled: 1-line block ×3, first 2 shown]
	v_lshlrev_b64 v[8:9], 2, v[6:7]
	v_lshlrev_b32_e32 v10, 5, v0
	v_mov_b32_e32 v0, v7
	v_mov_b32_e32 v6, 6
	;; [unrolled: 1-line block ×3, first 2 shown]
	s_waitcnt lgkmcnt(0)
	v_add_co_u32 v8, vcc_lo, s0, v8
	v_add_co_ci_u32_e64 v9, null, s1, v9, vcc_lo
	v_add_co_u32 v8, vcc_lo, v8, v10
	v_add_co_ci_u32_e64 v9, null, 0, v9, vcc_lo
	global_store_dwordx4 v[8:9], v[0:3], off
	global_store_dwordx4 v[8:9], v[4:7], off offset:16
	s_endpgm
	.section	.rodata,"a",@progbits
	.p2align	6, 0x0
	.amdhsa_kernel _Z17warp_store_kernelILj256ELj8ELj64ELN6hipcub18WarpStoreAlgorithmE2EiEvPT3_
		.amdhsa_group_segment_fixed_size 0
		.amdhsa_private_segment_fixed_size 0
		.amdhsa_kernarg_size 8
		.amdhsa_user_sgpr_count 6
		.amdhsa_user_sgpr_private_segment_buffer 1
		.amdhsa_user_sgpr_dispatch_ptr 0
		.amdhsa_user_sgpr_queue_ptr 0
		.amdhsa_user_sgpr_kernarg_segment_ptr 1
		.amdhsa_user_sgpr_dispatch_id 0
		.amdhsa_user_sgpr_flat_scratch_init 0
		.amdhsa_user_sgpr_private_segment_size 0
		.amdhsa_wavefront_size32 1
		.amdhsa_uses_dynamic_stack 0
		.amdhsa_system_sgpr_private_segment_wavefront_offset 0
		.amdhsa_system_sgpr_workgroup_id_x 1
		.amdhsa_system_sgpr_workgroup_id_y 0
		.amdhsa_system_sgpr_workgroup_id_z 0
		.amdhsa_system_sgpr_workgroup_info 0
		.amdhsa_system_vgpr_workitem_id 0
		.amdhsa_next_free_vgpr 11
		.amdhsa_next_free_sgpr 7
		.amdhsa_reserve_vcc 1
		.amdhsa_reserve_flat_scratch 0
		.amdhsa_float_round_mode_32 0
		.amdhsa_float_round_mode_16_64 0
		.amdhsa_float_denorm_mode_32 3
		.amdhsa_float_denorm_mode_16_64 3
		.amdhsa_dx10_clamp 1
		.amdhsa_ieee_mode 1
		.amdhsa_fp16_overflow 0
		.amdhsa_workgroup_processor_mode 1
		.amdhsa_memory_ordered 1
		.amdhsa_forward_progress 1
		.amdhsa_shared_vgpr_count 0
		.amdhsa_exception_fp_ieee_invalid_op 0
		.amdhsa_exception_fp_denorm_src 0
		.amdhsa_exception_fp_ieee_div_zero 0
		.amdhsa_exception_fp_ieee_overflow 0
		.amdhsa_exception_fp_ieee_underflow 0
		.amdhsa_exception_fp_ieee_inexact 0
		.amdhsa_exception_int_div_zero 0
	.end_amdhsa_kernel
	.section	.text._Z17warp_store_kernelILj256ELj8ELj64ELN6hipcub18WarpStoreAlgorithmE2EiEvPT3_,"axG",@progbits,_Z17warp_store_kernelILj256ELj8ELj64ELN6hipcub18WarpStoreAlgorithmE2EiEvPT3_,comdat
.Lfunc_end43:
	.size	_Z17warp_store_kernelILj256ELj8ELj64ELN6hipcub18WarpStoreAlgorithmE2EiEvPT3_, .Lfunc_end43-_Z17warp_store_kernelILj256ELj8ELj64ELN6hipcub18WarpStoreAlgorithmE2EiEvPT3_
                                        ; -- End function
	.set _Z17warp_store_kernelILj256ELj8ELj64ELN6hipcub18WarpStoreAlgorithmE2EiEvPT3_.num_vgpr, 11
	.set _Z17warp_store_kernelILj256ELj8ELj64ELN6hipcub18WarpStoreAlgorithmE2EiEvPT3_.num_agpr, 0
	.set _Z17warp_store_kernelILj256ELj8ELj64ELN6hipcub18WarpStoreAlgorithmE2EiEvPT3_.numbered_sgpr, 7
	.set _Z17warp_store_kernelILj256ELj8ELj64ELN6hipcub18WarpStoreAlgorithmE2EiEvPT3_.num_named_barrier, 0
	.set _Z17warp_store_kernelILj256ELj8ELj64ELN6hipcub18WarpStoreAlgorithmE2EiEvPT3_.private_seg_size, 0
	.set _Z17warp_store_kernelILj256ELj8ELj64ELN6hipcub18WarpStoreAlgorithmE2EiEvPT3_.uses_vcc, 1
	.set _Z17warp_store_kernelILj256ELj8ELj64ELN6hipcub18WarpStoreAlgorithmE2EiEvPT3_.uses_flat_scratch, 0
	.set _Z17warp_store_kernelILj256ELj8ELj64ELN6hipcub18WarpStoreAlgorithmE2EiEvPT3_.has_dyn_sized_stack, 0
	.set _Z17warp_store_kernelILj256ELj8ELj64ELN6hipcub18WarpStoreAlgorithmE2EiEvPT3_.has_recursion, 0
	.set _Z17warp_store_kernelILj256ELj8ELj64ELN6hipcub18WarpStoreAlgorithmE2EiEvPT3_.has_indirect_call, 0
	.section	.AMDGPU.csdata,"",@progbits
; Kernel info:
; codeLenInByte = 140
; TotalNumSgprs: 9
; NumVgprs: 11
; ScratchSize: 0
; MemoryBound: 0
; FloatMode: 240
; IeeeMode: 1
; LDSByteSize: 0 bytes/workgroup (compile time only)
; SGPRBlocks: 0
; VGPRBlocks: 1
; NumSGPRsForWavesPerEU: 9
; NumVGPRsForWavesPerEU: 11
; Occupancy: 16
; WaveLimiterHint : 0
; COMPUTE_PGM_RSRC2:SCRATCH_EN: 0
; COMPUTE_PGM_RSRC2:USER_SGPR: 6
; COMPUTE_PGM_RSRC2:TRAP_HANDLER: 0
; COMPUTE_PGM_RSRC2:TGID_X_EN: 1
; COMPUTE_PGM_RSRC2:TGID_Y_EN: 0
; COMPUTE_PGM_RSRC2:TGID_Z_EN: 0
; COMPUTE_PGM_RSRC2:TIDIG_COMP_CNT: 0
	.section	.text._Z17warp_store_kernelILj256ELj8ELj64ELN6hipcub18WarpStoreAlgorithmE3EiEvPT3_,"axG",@progbits,_Z17warp_store_kernelILj256ELj8ELj64ELN6hipcub18WarpStoreAlgorithmE3EiEvPT3_,comdat
	.protected	_Z17warp_store_kernelILj256ELj8ELj64ELN6hipcub18WarpStoreAlgorithmE3EiEvPT3_ ; -- Begin function _Z17warp_store_kernelILj256ELj8ELj64ELN6hipcub18WarpStoreAlgorithmE3EiEvPT3_
	.globl	_Z17warp_store_kernelILj256ELj8ELj64ELN6hipcub18WarpStoreAlgorithmE3EiEvPT3_
	.p2align	8
	.type	_Z17warp_store_kernelILj256ELj8ELj64ELN6hipcub18WarpStoreAlgorithmE3EiEvPT3_,@function
_Z17warp_store_kernelILj256ELj8ELj64ELN6hipcub18WarpStoreAlgorithmE3EiEvPT3_: ; @_Z17warp_store_kernelILj256ELj8ELj64ELN6hipcub18WarpStoreAlgorithmE3EiEvPT3_
; %bb.0:
	v_mbcnt_lo_u32_b32 v6, -1, 0
	v_lshrrev_b32_e32 v8, 6, v0
	s_load_dwordx2 s[0:1], s[4:5], 0x0
	v_mov_b32_e32 v9, 0
	s_lshl_b32 s2, s6, 11
	v_lshlrev_b32_e32 v12, 2, v6
	v_lshlrev_b32_e32 v10, 11, v8
	v_mov_b32_e32 v1, 1
	v_mov_b32_e32 v2, 2
	;; [unrolled: 1-line block ×4, first 2 shown]
	v_lshl_or_b32 v11, v6, 5, v10
	v_lshl_or_b32 v8, v8, 9, s2
	v_or_b32_e32 v10, v10, v12
	v_mov_b32_e32 v4, 4
	v_mov_b32_e32 v5, 5
	;; [unrolled: 1-line block ×4, first 2 shown]
	ds_write_b128 v11, v[0:3]
	ds_write_b128 v11, v[4:7] offset:16
	; wave barrier
	ds_read2st64_b32 v[0:1], v10 offset1:1
	v_lshlrev_b64 v[2:3], 2, v[8:9]
	ds_read2st64_b32 v[4:5], v10 offset0:2 offset1:3
	ds_read2st64_b32 v[6:7], v10 offset0:4 offset1:5
	;; [unrolled: 1-line block ×3, first 2 shown]
	s_waitcnt lgkmcnt(0)
	v_add_co_u32 v2, vcc_lo, s0, v2
	v_add_co_ci_u32_e64 v3, null, s1, v3, vcc_lo
	v_add_co_u32 v2, vcc_lo, v2, v12
	v_add_co_ci_u32_e64 v3, null, 0, v3, vcc_lo
	global_store_dword v[2:3], v0, off
	global_store_dword v[2:3], v1, off offset:256
	global_store_dword v[2:3], v4, off offset:512
	;; [unrolled: 1-line block ×7, first 2 shown]
	s_endpgm
	.section	.rodata,"a",@progbits
	.p2align	6, 0x0
	.amdhsa_kernel _Z17warp_store_kernelILj256ELj8ELj64ELN6hipcub18WarpStoreAlgorithmE3EiEvPT3_
		.amdhsa_group_segment_fixed_size 8192
		.amdhsa_private_segment_fixed_size 0
		.amdhsa_kernarg_size 8
		.amdhsa_user_sgpr_count 6
		.amdhsa_user_sgpr_private_segment_buffer 1
		.amdhsa_user_sgpr_dispatch_ptr 0
		.amdhsa_user_sgpr_queue_ptr 0
		.amdhsa_user_sgpr_kernarg_segment_ptr 1
		.amdhsa_user_sgpr_dispatch_id 0
		.amdhsa_user_sgpr_flat_scratch_init 0
		.amdhsa_user_sgpr_private_segment_size 0
		.amdhsa_wavefront_size32 1
		.amdhsa_uses_dynamic_stack 0
		.amdhsa_system_sgpr_private_segment_wavefront_offset 0
		.amdhsa_system_sgpr_workgroup_id_x 1
		.amdhsa_system_sgpr_workgroup_id_y 0
		.amdhsa_system_sgpr_workgroup_id_z 0
		.amdhsa_system_sgpr_workgroup_info 0
		.amdhsa_system_vgpr_workitem_id 0
		.amdhsa_next_free_vgpr 13
		.amdhsa_next_free_sgpr 7
		.amdhsa_reserve_vcc 1
		.amdhsa_reserve_flat_scratch 0
		.amdhsa_float_round_mode_32 0
		.amdhsa_float_round_mode_16_64 0
		.amdhsa_float_denorm_mode_32 3
		.amdhsa_float_denorm_mode_16_64 3
		.amdhsa_dx10_clamp 1
		.amdhsa_ieee_mode 1
		.amdhsa_fp16_overflow 0
		.amdhsa_workgroup_processor_mode 1
		.amdhsa_memory_ordered 1
		.amdhsa_forward_progress 1
		.amdhsa_shared_vgpr_count 0
		.amdhsa_exception_fp_ieee_invalid_op 0
		.amdhsa_exception_fp_denorm_src 0
		.amdhsa_exception_fp_ieee_div_zero 0
		.amdhsa_exception_fp_ieee_overflow 0
		.amdhsa_exception_fp_ieee_underflow 0
		.amdhsa_exception_fp_ieee_inexact 0
		.amdhsa_exception_int_div_zero 0
	.end_amdhsa_kernel
	.section	.text._Z17warp_store_kernelILj256ELj8ELj64ELN6hipcub18WarpStoreAlgorithmE3EiEvPT3_,"axG",@progbits,_Z17warp_store_kernelILj256ELj8ELj64ELN6hipcub18WarpStoreAlgorithmE3EiEvPT3_,comdat
.Lfunc_end44:
	.size	_Z17warp_store_kernelILj256ELj8ELj64ELN6hipcub18WarpStoreAlgorithmE3EiEvPT3_, .Lfunc_end44-_Z17warp_store_kernelILj256ELj8ELj64ELN6hipcub18WarpStoreAlgorithmE3EiEvPT3_
                                        ; -- End function
	.set _Z17warp_store_kernelILj256ELj8ELj64ELN6hipcub18WarpStoreAlgorithmE3EiEvPT3_.num_vgpr, 13
	.set _Z17warp_store_kernelILj256ELj8ELj64ELN6hipcub18WarpStoreAlgorithmE3EiEvPT3_.num_agpr, 0
	.set _Z17warp_store_kernelILj256ELj8ELj64ELN6hipcub18WarpStoreAlgorithmE3EiEvPT3_.numbered_sgpr, 7
	.set _Z17warp_store_kernelILj256ELj8ELj64ELN6hipcub18WarpStoreAlgorithmE3EiEvPT3_.num_named_barrier, 0
	.set _Z17warp_store_kernelILj256ELj8ELj64ELN6hipcub18WarpStoreAlgorithmE3EiEvPT3_.private_seg_size, 0
	.set _Z17warp_store_kernelILj256ELj8ELj64ELN6hipcub18WarpStoreAlgorithmE3EiEvPT3_.uses_vcc, 1
	.set _Z17warp_store_kernelILj256ELj8ELj64ELN6hipcub18WarpStoreAlgorithmE3EiEvPT3_.uses_flat_scratch, 0
	.set _Z17warp_store_kernelILj256ELj8ELj64ELN6hipcub18WarpStoreAlgorithmE3EiEvPT3_.has_dyn_sized_stack, 0
	.set _Z17warp_store_kernelILj256ELj8ELj64ELN6hipcub18WarpStoreAlgorithmE3EiEvPT3_.has_recursion, 0
	.set _Z17warp_store_kernelILj256ELj8ELj64ELN6hipcub18WarpStoreAlgorithmE3EiEvPT3_.has_indirect_call, 0
	.section	.AMDGPU.csdata,"",@progbits
; Kernel info:
; codeLenInByte = 248
; TotalNumSgprs: 9
; NumVgprs: 13
; ScratchSize: 0
; MemoryBound: 1
; FloatMode: 240
; IeeeMode: 1
; LDSByteSize: 8192 bytes/workgroup (compile time only)
; SGPRBlocks: 0
; VGPRBlocks: 1
; NumSGPRsForWavesPerEU: 9
; NumVGPRsForWavesPerEU: 13
; Occupancy: 16
; WaveLimiterHint : 1
; COMPUTE_PGM_RSRC2:SCRATCH_EN: 0
; COMPUTE_PGM_RSRC2:USER_SGPR: 6
; COMPUTE_PGM_RSRC2:TRAP_HANDLER: 0
; COMPUTE_PGM_RSRC2:TGID_X_EN: 1
; COMPUTE_PGM_RSRC2:TGID_Y_EN: 0
; COMPUTE_PGM_RSRC2:TGID_Z_EN: 0
; COMPUTE_PGM_RSRC2:TIDIG_COMP_CNT: 0
	.section	.text._Z17warp_store_kernelILj256ELj16ELj64ELN6hipcub18WarpStoreAlgorithmE0EiEvPT3_,"axG",@progbits,_Z17warp_store_kernelILj256ELj16ELj64ELN6hipcub18WarpStoreAlgorithmE0EiEvPT3_,comdat
	.protected	_Z17warp_store_kernelILj256ELj16ELj64ELN6hipcub18WarpStoreAlgorithmE0EiEvPT3_ ; -- Begin function _Z17warp_store_kernelILj256ELj16ELj64ELN6hipcub18WarpStoreAlgorithmE0EiEvPT3_
	.globl	_Z17warp_store_kernelILj256ELj16ELj64ELN6hipcub18WarpStoreAlgorithmE0EiEvPT3_
	.p2align	8
	.type	_Z17warp_store_kernelILj256ELj16ELj64ELN6hipcub18WarpStoreAlgorithmE0EiEvPT3_,@function
_Z17warp_store_kernelILj256ELj16ELj64ELN6hipcub18WarpStoreAlgorithmE0EiEvPT3_: ; @_Z17warp_store_kernelILj256ELj16ELj64ELN6hipcub18WarpStoreAlgorithmE0EiEvPT3_
; %bb.0:
	s_load_dwordx2 s[0:1], s[4:5], 0x0
	v_lshlrev_b32_e32 v0, 4, v0
	s_lshl_b32 s2, s6, 12
	v_mov_b32_e32 v9, 0
	v_mbcnt_lo_u32_b32 v12, -1, 0
	v_mov_b32_e32 v1, 1
	v_and_or_b32 v8, 0xc00, v0, s2
	v_mov_b32_e32 v2, 2
	v_mov_b32_e32 v3, 3
	v_lshlrev_b32_e32 v12, 6, v12
	v_mov_b32_e32 v0, v9
	v_lshlrev_b64 v[10:11], 2, v[8:9]
	v_mov_b32_e32 v4, 4
	v_mov_b32_e32 v5, 5
	;; [unrolled: 1-line block ×8, first 2 shown]
	s_waitcnt lgkmcnt(0)
	v_add_co_u32 v10, vcc_lo, s0, v10
	v_add_co_ci_u32_e64 v11, null, s1, v11, vcc_lo
	v_mov_b32_e32 v15, 15
	v_add_co_u32 v16, vcc_lo, v10, v12
	v_add_co_ci_u32_e64 v17, null, 0, v11, vcc_lo
	v_mov_b32_e32 v10, 10
	v_mov_b32_e32 v11, 11
	;; [unrolled: 1-line block ×3, first 2 shown]
	global_store_dwordx4 v[16:17], v[0:3], off
	global_store_dwordx4 v[16:17], v[4:7], off offset:16
	global_store_dwordx4 v[16:17], v[8:11], off offset:32
	;; [unrolled: 1-line block ×3, first 2 shown]
	s_endpgm
	.section	.rodata,"a",@progbits
	.p2align	6, 0x0
	.amdhsa_kernel _Z17warp_store_kernelILj256ELj16ELj64ELN6hipcub18WarpStoreAlgorithmE0EiEvPT3_
		.amdhsa_group_segment_fixed_size 0
		.amdhsa_private_segment_fixed_size 0
		.amdhsa_kernarg_size 8
		.amdhsa_user_sgpr_count 6
		.amdhsa_user_sgpr_private_segment_buffer 1
		.amdhsa_user_sgpr_dispatch_ptr 0
		.amdhsa_user_sgpr_queue_ptr 0
		.amdhsa_user_sgpr_kernarg_segment_ptr 1
		.amdhsa_user_sgpr_dispatch_id 0
		.amdhsa_user_sgpr_flat_scratch_init 0
		.amdhsa_user_sgpr_private_segment_size 0
		.amdhsa_wavefront_size32 1
		.amdhsa_uses_dynamic_stack 0
		.amdhsa_system_sgpr_private_segment_wavefront_offset 0
		.amdhsa_system_sgpr_workgroup_id_x 1
		.amdhsa_system_sgpr_workgroup_id_y 0
		.amdhsa_system_sgpr_workgroup_id_z 0
		.amdhsa_system_sgpr_workgroup_info 0
		.amdhsa_system_vgpr_workitem_id 0
		.amdhsa_next_free_vgpr 18
		.amdhsa_next_free_sgpr 7
		.amdhsa_reserve_vcc 1
		.amdhsa_reserve_flat_scratch 0
		.amdhsa_float_round_mode_32 0
		.amdhsa_float_round_mode_16_64 0
		.amdhsa_float_denorm_mode_32 3
		.amdhsa_float_denorm_mode_16_64 3
		.amdhsa_dx10_clamp 1
		.amdhsa_ieee_mode 1
		.amdhsa_fp16_overflow 0
		.amdhsa_workgroup_processor_mode 1
		.amdhsa_memory_ordered 1
		.amdhsa_forward_progress 1
		.amdhsa_shared_vgpr_count 0
		.amdhsa_exception_fp_ieee_invalid_op 0
		.amdhsa_exception_fp_denorm_src 0
		.amdhsa_exception_fp_ieee_div_zero 0
		.amdhsa_exception_fp_ieee_overflow 0
		.amdhsa_exception_fp_ieee_underflow 0
		.amdhsa_exception_fp_ieee_inexact 0
		.amdhsa_exception_int_div_zero 0
	.end_amdhsa_kernel
	.section	.text._Z17warp_store_kernelILj256ELj16ELj64ELN6hipcub18WarpStoreAlgorithmE0EiEvPT3_,"axG",@progbits,_Z17warp_store_kernelILj256ELj16ELj64ELN6hipcub18WarpStoreAlgorithmE0EiEvPT3_,comdat
.Lfunc_end45:
	.size	_Z17warp_store_kernelILj256ELj16ELj64ELN6hipcub18WarpStoreAlgorithmE0EiEvPT3_, .Lfunc_end45-_Z17warp_store_kernelILj256ELj16ELj64ELN6hipcub18WarpStoreAlgorithmE0EiEvPT3_
                                        ; -- End function
	.set _Z17warp_store_kernelILj256ELj16ELj64ELN6hipcub18WarpStoreAlgorithmE0EiEvPT3_.num_vgpr, 18
	.set _Z17warp_store_kernelILj256ELj16ELj64ELN6hipcub18WarpStoreAlgorithmE0EiEvPT3_.num_agpr, 0
	.set _Z17warp_store_kernelILj256ELj16ELj64ELN6hipcub18WarpStoreAlgorithmE0EiEvPT3_.numbered_sgpr, 7
	.set _Z17warp_store_kernelILj256ELj16ELj64ELN6hipcub18WarpStoreAlgorithmE0EiEvPT3_.num_named_barrier, 0
	.set _Z17warp_store_kernelILj256ELj16ELj64ELN6hipcub18WarpStoreAlgorithmE0EiEvPT3_.private_seg_size, 0
	.set _Z17warp_store_kernelILj256ELj16ELj64ELN6hipcub18WarpStoreAlgorithmE0EiEvPT3_.uses_vcc, 1
	.set _Z17warp_store_kernelILj256ELj16ELj64ELN6hipcub18WarpStoreAlgorithmE0EiEvPT3_.uses_flat_scratch, 0
	.set _Z17warp_store_kernelILj256ELj16ELj64ELN6hipcub18WarpStoreAlgorithmE0EiEvPT3_.has_dyn_sized_stack, 0
	.set _Z17warp_store_kernelILj256ELj16ELj64ELN6hipcub18WarpStoreAlgorithmE0EiEvPT3_.has_recursion, 0
	.set _Z17warp_store_kernelILj256ELj16ELj64ELN6hipcub18WarpStoreAlgorithmE0EiEvPT3_.has_indirect_call, 0
	.section	.AMDGPU.csdata,"",@progbits
; Kernel info:
; codeLenInByte = 188
; TotalNumSgprs: 9
; NumVgprs: 18
; ScratchSize: 0
; MemoryBound: 1
; FloatMode: 240
; IeeeMode: 1
; LDSByteSize: 0 bytes/workgroup (compile time only)
; SGPRBlocks: 0
; VGPRBlocks: 2
; NumSGPRsForWavesPerEU: 9
; NumVGPRsForWavesPerEU: 18
; Occupancy: 16
; WaveLimiterHint : 1
; COMPUTE_PGM_RSRC2:SCRATCH_EN: 0
; COMPUTE_PGM_RSRC2:USER_SGPR: 6
; COMPUTE_PGM_RSRC2:TRAP_HANDLER: 0
; COMPUTE_PGM_RSRC2:TGID_X_EN: 1
; COMPUTE_PGM_RSRC2:TGID_Y_EN: 0
; COMPUTE_PGM_RSRC2:TGID_Z_EN: 0
; COMPUTE_PGM_RSRC2:TIDIG_COMP_CNT: 0
	.section	.text._Z17warp_store_kernelILj256ELj16ELj64ELN6hipcub18WarpStoreAlgorithmE1EiEvPT3_,"axG",@progbits,_Z17warp_store_kernelILj256ELj16ELj64ELN6hipcub18WarpStoreAlgorithmE1EiEvPT3_,comdat
	.protected	_Z17warp_store_kernelILj256ELj16ELj64ELN6hipcub18WarpStoreAlgorithmE1EiEvPT3_ ; -- Begin function _Z17warp_store_kernelILj256ELj16ELj64ELN6hipcub18WarpStoreAlgorithmE1EiEvPT3_
	.globl	_Z17warp_store_kernelILj256ELj16ELj64ELN6hipcub18WarpStoreAlgorithmE1EiEvPT3_
	.p2align	8
	.type	_Z17warp_store_kernelILj256ELj16ELj64ELN6hipcub18WarpStoreAlgorithmE1EiEvPT3_,@function
_Z17warp_store_kernelILj256ELj16ELj64ELN6hipcub18WarpStoreAlgorithmE1EiEvPT3_: ; @_Z17warp_store_kernelILj256ELj16ELj64ELN6hipcub18WarpStoreAlgorithmE1EiEvPT3_
; %bb.0:
	s_load_dwordx2 s[0:1], s[4:5], 0x0
	v_lshlrev_b32_e32 v0, 4, v0
	s_lshl_b32 s2, s6, 12
	v_mov_b32_e32 v1, 0
	v_mbcnt_lo_u32_b32 v4, -1, 0
	v_mov_b32_e32 v6, 1
	v_and_or_b32 v0, 0xc00, v0, s2
	v_mov_b32_e32 v5, 2
	v_mov_b32_e32 v7, 5
	v_lshlrev_b32_e32 v4, 2, v4
	v_mov_b32_e32 v8, 6
	v_lshlrev_b64 v[2:3], 2, v[0:1]
	v_mov_b32_e32 v0, 4
	v_mov_b32_e32 v9, 7
	s_waitcnt lgkmcnt(0)
	v_add_co_u32 v2, vcc_lo, s0, v2
	v_add_co_ci_u32_e64 v3, null, s1, v3, vcc_lo
	v_add_co_u32 v2, vcc_lo, v2, v4
	v_add_co_ci_u32_e64 v3, null, 0, v3, vcc_lo
	v_mov_b32_e32 v4, 3
	global_store_dword v[2:3], v1, off
	global_store_dword v[2:3], v6, off offset:256
	global_store_dword v[2:3], v5, off offset:512
	;; [unrolled: 1-line block ×5, first 2 shown]
	v_add_co_u32 v0, vcc_lo, 0x800, v2
	v_add_co_ci_u32_e64 v1, null, 0, v3, vcc_lo
	v_mov_b32_e32 v4, 8
	v_mov_b32_e32 v5, 9
	;; [unrolled: 1-line block ×3, first 2 shown]
	global_store_dword v[2:3], v8, off offset:1536
	global_store_dword v[2:3], v9, off offset:1792
	global_store_dword v[0:1], v4, off
	global_store_dword v[0:1], v5, off offset:256
	global_store_dword v[0:1], v6, off offset:512
	v_mov_b32_e32 v2, 11
	v_mov_b32_e32 v3, 12
	v_mov_b32_e32 v4, 13
	v_mov_b32_e32 v5, 14
	v_mov_b32_e32 v6, 15
	global_store_dword v[0:1], v2, off offset:768
	global_store_dword v[0:1], v3, off offset:1024
	;; [unrolled: 1-line block ×5, first 2 shown]
	s_endpgm
	.section	.rodata,"a",@progbits
	.p2align	6, 0x0
	.amdhsa_kernel _Z17warp_store_kernelILj256ELj16ELj64ELN6hipcub18WarpStoreAlgorithmE1EiEvPT3_
		.amdhsa_group_segment_fixed_size 0
		.amdhsa_private_segment_fixed_size 0
		.amdhsa_kernarg_size 8
		.amdhsa_user_sgpr_count 6
		.amdhsa_user_sgpr_private_segment_buffer 1
		.amdhsa_user_sgpr_dispatch_ptr 0
		.amdhsa_user_sgpr_queue_ptr 0
		.amdhsa_user_sgpr_kernarg_segment_ptr 1
		.amdhsa_user_sgpr_dispatch_id 0
		.amdhsa_user_sgpr_flat_scratch_init 0
		.amdhsa_user_sgpr_private_segment_size 0
		.amdhsa_wavefront_size32 1
		.amdhsa_uses_dynamic_stack 0
		.amdhsa_system_sgpr_private_segment_wavefront_offset 0
		.amdhsa_system_sgpr_workgroup_id_x 1
		.amdhsa_system_sgpr_workgroup_id_y 0
		.amdhsa_system_sgpr_workgroup_id_z 0
		.amdhsa_system_sgpr_workgroup_info 0
		.amdhsa_system_vgpr_workitem_id 0
		.amdhsa_next_free_vgpr 10
		.amdhsa_next_free_sgpr 7
		.amdhsa_reserve_vcc 1
		.amdhsa_reserve_flat_scratch 0
		.amdhsa_float_round_mode_32 0
		.amdhsa_float_round_mode_16_64 0
		.amdhsa_float_denorm_mode_32 3
		.amdhsa_float_denorm_mode_16_64 3
		.amdhsa_dx10_clamp 1
		.amdhsa_ieee_mode 1
		.amdhsa_fp16_overflow 0
		.amdhsa_workgroup_processor_mode 1
		.amdhsa_memory_ordered 1
		.amdhsa_forward_progress 1
		.amdhsa_shared_vgpr_count 0
		.amdhsa_exception_fp_ieee_invalid_op 0
		.amdhsa_exception_fp_denorm_src 0
		.amdhsa_exception_fp_ieee_div_zero 0
		.amdhsa_exception_fp_ieee_overflow 0
		.amdhsa_exception_fp_ieee_underflow 0
		.amdhsa_exception_fp_ieee_inexact 0
		.amdhsa_exception_int_div_zero 0
	.end_amdhsa_kernel
	.section	.text._Z17warp_store_kernelILj256ELj16ELj64ELN6hipcub18WarpStoreAlgorithmE1EiEvPT3_,"axG",@progbits,_Z17warp_store_kernelILj256ELj16ELj64ELN6hipcub18WarpStoreAlgorithmE1EiEvPT3_,comdat
.Lfunc_end46:
	.size	_Z17warp_store_kernelILj256ELj16ELj64ELN6hipcub18WarpStoreAlgorithmE1EiEvPT3_, .Lfunc_end46-_Z17warp_store_kernelILj256ELj16ELj64ELN6hipcub18WarpStoreAlgorithmE1EiEvPT3_
                                        ; -- End function
	.set _Z17warp_store_kernelILj256ELj16ELj64ELN6hipcub18WarpStoreAlgorithmE1EiEvPT3_.num_vgpr, 10
	.set _Z17warp_store_kernelILj256ELj16ELj64ELN6hipcub18WarpStoreAlgorithmE1EiEvPT3_.num_agpr, 0
	.set _Z17warp_store_kernelILj256ELj16ELj64ELN6hipcub18WarpStoreAlgorithmE1EiEvPT3_.numbered_sgpr, 7
	.set _Z17warp_store_kernelILj256ELj16ELj64ELN6hipcub18WarpStoreAlgorithmE1EiEvPT3_.num_named_barrier, 0
	.set _Z17warp_store_kernelILj256ELj16ELj64ELN6hipcub18WarpStoreAlgorithmE1EiEvPT3_.private_seg_size, 0
	.set _Z17warp_store_kernelILj256ELj16ELj64ELN6hipcub18WarpStoreAlgorithmE1EiEvPT3_.uses_vcc, 1
	.set _Z17warp_store_kernelILj256ELj16ELj64ELN6hipcub18WarpStoreAlgorithmE1EiEvPT3_.uses_flat_scratch, 0
	.set _Z17warp_store_kernelILj256ELj16ELj64ELN6hipcub18WarpStoreAlgorithmE1EiEvPT3_.has_dyn_sized_stack, 0
	.set _Z17warp_store_kernelILj256ELj16ELj64ELN6hipcub18WarpStoreAlgorithmE1EiEvPT3_.has_recursion, 0
	.set _Z17warp_store_kernelILj256ELj16ELj64ELN6hipcub18WarpStoreAlgorithmE1EiEvPT3_.has_indirect_call, 0
	.section	.AMDGPU.csdata,"",@progbits
; Kernel info:
; codeLenInByte = 300
; TotalNumSgprs: 9
; NumVgprs: 10
; ScratchSize: 0
; MemoryBound: 0
; FloatMode: 240
; IeeeMode: 1
; LDSByteSize: 0 bytes/workgroup (compile time only)
; SGPRBlocks: 0
; VGPRBlocks: 1
; NumSGPRsForWavesPerEU: 9
; NumVGPRsForWavesPerEU: 10
; Occupancy: 16
; WaveLimiterHint : 1
; COMPUTE_PGM_RSRC2:SCRATCH_EN: 0
; COMPUTE_PGM_RSRC2:USER_SGPR: 6
; COMPUTE_PGM_RSRC2:TRAP_HANDLER: 0
; COMPUTE_PGM_RSRC2:TGID_X_EN: 1
; COMPUTE_PGM_RSRC2:TGID_Y_EN: 0
; COMPUTE_PGM_RSRC2:TGID_Z_EN: 0
; COMPUTE_PGM_RSRC2:TIDIG_COMP_CNT: 0
	.section	.text._Z17warp_store_kernelILj256ELj16ELj64ELN6hipcub18WarpStoreAlgorithmE2EiEvPT3_,"axG",@progbits,_Z17warp_store_kernelILj256ELj16ELj64ELN6hipcub18WarpStoreAlgorithmE2EiEvPT3_,comdat
	.protected	_Z17warp_store_kernelILj256ELj16ELj64ELN6hipcub18WarpStoreAlgorithmE2EiEvPT3_ ; -- Begin function _Z17warp_store_kernelILj256ELj16ELj64ELN6hipcub18WarpStoreAlgorithmE2EiEvPT3_
	.globl	_Z17warp_store_kernelILj256ELj16ELj64ELN6hipcub18WarpStoreAlgorithmE2EiEvPT3_
	.p2align	8
	.type	_Z17warp_store_kernelILj256ELj16ELj64ELN6hipcub18WarpStoreAlgorithmE2EiEvPT3_,@function
_Z17warp_store_kernelILj256ELj16ELj64ELN6hipcub18WarpStoreAlgorithmE2EiEvPT3_: ; @_Z17warp_store_kernelILj256ELj16ELj64ELN6hipcub18WarpStoreAlgorithmE2EiEvPT3_
; %bb.0:
	s_load_dwordx2 s[0:1], s[4:5], 0x0
	v_lshlrev_b32_e32 v0, 4, v0
	s_lshl_b32 s2, s6, 12
	v_mov_b32_e32 v9, 0
	v_mbcnt_lo_u32_b32 v12, -1, 0
	v_mov_b32_e32 v1, 1
	v_and_or_b32 v8, 0xc00, v0, s2
	v_mov_b32_e32 v2, 2
	v_mov_b32_e32 v3, 3
	v_lshlrev_b32_e32 v12, 6, v12
	v_mov_b32_e32 v0, v9
	v_lshlrev_b64 v[10:11], 2, v[8:9]
	v_mov_b32_e32 v4, 4
	v_mov_b32_e32 v5, 5
	;; [unrolled: 1-line block ×8, first 2 shown]
	s_waitcnt lgkmcnt(0)
	v_add_co_u32 v10, vcc_lo, s0, v10
	v_add_co_ci_u32_e64 v11, null, s1, v11, vcc_lo
	v_mov_b32_e32 v15, 15
	v_add_co_u32 v16, vcc_lo, v10, v12
	v_add_co_ci_u32_e64 v17, null, 0, v11, vcc_lo
	v_mov_b32_e32 v10, 10
	v_mov_b32_e32 v11, 11
	;; [unrolled: 1-line block ×3, first 2 shown]
	global_store_dwordx4 v[16:17], v[0:3], off
	global_store_dwordx4 v[16:17], v[4:7], off offset:16
	global_store_dwordx4 v[16:17], v[8:11], off offset:32
	;; [unrolled: 1-line block ×3, first 2 shown]
	s_endpgm
	.section	.rodata,"a",@progbits
	.p2align	6, 0x0
	.amdhsa_kernel _Z17warp_store_kernelILj256ELj16ELj64ELN6hipcub18WarpStoreAlgorithmE2EiEvPT3_
		.amdhsa_group_segment_fixed_size 0
		.amdhsa_private_segment_fixed_size 0
		.amdhsa_kernarg_size 8
		.amdhsa_user_sgpr_count 6
		.amdhsa_user_sgpr_private_segment_buffer 1
		.amdhsa_user_sgpr_dispatch_ptr 0
		.amdhsa_user_sgpr_queue_ptr 0
		.amdhsa_user_sgpr_kernarg_segment_ptr 1
		.amdhsa_user_sgpr_dispatch_id 0
		.amdhsa_user_sgpr_flat_scratch_init 0
		.amdhsa_user_sgpr_private_segment_size 0
		.amdhsa_wavefront_size32 1
		.amdhsa_uses_dynamic_stack 0
		.amdhsa_system_sgpr_private_segment_wavefront_offset 0
		.amdhsa_system_sgpr_workgroup_id_x 1
		.amdhsa_system_sgpr_workgroup_id_y 0
		.amdhsa_system_sgpr_workgroup_id_z 0
		.amdhsa_system_sgpr_workgroup_info 0
		.amdhsa_system_vgpr_workitem_id 0
		.amdhsa_next_free_vgpr 18
		.amdhsa_next_free_sgpr 7
		.amdhsa_reserve_vcc 1
		.amdhsa_reserve_flat_scratch 0
		.amdhsa_float_round_mode_32 0
		.amdhsa_float_round_mode_16_64 0
		.amdhsa_float_denorm_mode_32 3
		.amdhsa_float_denorm_mode_16_64 3
		.amdhsa_dx10_clamp 1
		.amdhsa_ieee_mode 1
		.amdhsa_fp16_overflow 0
		.amdhsa_workgroup_processor_mode 1
		.amdhsa_memory_ordered 1
		.amdhsa_forward_progress 1
		.amdhsa_shared_vgpr_count 0
		.amdhsa_exception_fp_ieee_invalid_op 0
		.amdhsa_exception_fp_denorm_src 0
		.amdhsa_exception_fp_ieee_div_zero 0
		.amdhsa_exception_fp_ieee_overflow 0
		.amdhsa_exception_fp_ieee_underflow 0
		.amdhsa_exception_fp_ieee_inexact 0
		.amdhsa_exception_int_div_zero 0
	.end_amdhsa_kernel
	.section	.text._Z17warp_store_kernelILj256ELj16ELj64ELN6hipcub18WarpStoreAlgorithmE2EiEvPT3_,"axG",@progbits,_Z17warp_store_kernelILj256ELj16ELj64ELN6hipcub18WarpStoreAlgorithmE2EiEvPT3_,comdat
.Lfunc_end47:
	.size	_Z17warp_store_kernelILj256ELj16ELj64ELN6hipcub18WarpStoreAlgorithmE2EiEvPT3_, .Lfunc_end47-_Z17warp_store_kernelILj256ELj16ELj64ELN6hipcub18WarpStoreAlgorithmE2EiEvPT3_
                                        ; -- End function
	.set _Z17warp_store_kernelILj256ELj16ELj64ELN6hipcub18WarpStoreAlgorithmE2EiEvPT3_.num_vgpr, 18
	.set _Z17warp_store_kernelILj256ELj16ELj64ELN6hipcub18WarpStoreAlgorithmE2EiEvPT3_.num_agpr, 0
	.set _Z17warp_store_kernelILj256ELj16ELj64ELN6hipcub18WarpStoreAlgorithmE2EiEvPT3_.numbered_sgpr, 7
	.set _Z17warp_store_kernelILj256ELj16ELj64ELN6hipcub18WarpStoreAlgorithmE2EiEvPT3_.num_named_barrier, 0
	.set _Z17warp_store_kernelILj256ELj16ELj64ELN6hipcub18WarpStoreAlgorithmE2EiEvPT3_.private_seg_size, 0
	.set _Z17warp_store_kernelILj256ELj16ELj64ELN6hipcub18WarpStoreAlgorithmE2EiEvPT3_.uses_vcc, 1
	.set _Z17warp_store_kernelILj256ELj16ELj64ELN6hipcub18WarpStoreAlgorithmE2EiEvPT3_.uses_flat_scratch, 0
	.set _Z17warp_store_kernelILj256ELj16ELj64ELN6hipcub18WarpStoreAlgorithmE2EiEvPT3_.has_dyn_sized_stack, 0
	.set _Z17warp_store_kernelILj256ELj16ELj64ELN6hipcub18WarpStoreAlgorithmE2EiEvPT3_.has_recursion, 0
	.set _Z17warp_store_kernelILj256ELj16ELj64ELN6hipcub18WarpStoreAlgorithmE2EiEvPT3_.has_indirect_call, 0
	.section	.AMDGPU.csdata,"",@progbits
; Kernel info:
; codeLenInByte = 188
; TotalNumSgprs: 9
; NumVgprs: 18
; ScratchSize: 0
; MemoryBound: 1
; FloatMode: 240
; IeeeMode: 1
; LDSByteSize: 0 bytes/workgroup (compile time only)
; SGPRBlocks: 0
; VGPRBlocks: 2
; NumSGPRsForWavesPerEU: 9
; NumVGPRsForWavesPerEU: 18
; Occupancy: 16
; WaveLimiterHint : 1
; COMPUTE_PGM_RSRC2:SCRATCH_EN: 0
; COMPUTE_PGM_RSRC2:USER_SGPR: 6
; COMPUTE_PGM_RSRC2:TRAP_HANDLER: 0
; COMPUTE_PGM_RSRC2:TGID_X_EN: 1
; COMPUTE_PGM_RSRC2:TGID_Y_EN: 0
; COMPUTE_PGM_RSRC2:TGID_Z_EN: 0
; COMPUTE_PGM_RSRC2:TIDIG_COMP_CNT: 0
	.section	.text._Z17warp_store_kernelILj256ELj16ELj64ELN6hipcub18WarpStoreAlgorithmE3EiEvPT3_,"axG",@progbits,_Z17warp_store_kernelILj256ELj16ELj64ELN6hipcub18WarpStoreAlgorithmE3EiEvPT3_,comdat
	.protected	_Z17warp_store_kernelILj256ELj16ELj64ELN6hipcub18WarpStoreAlgorithmE3EiEvPT3_ ; -- Begin function _Z17warp_store_kernelILj256ELj16ELj64ELN6hipcub18WarpStoreAlgorithmE3EiEvPT3_
	.globl	_Z17warp_store_kernelILj256ELj16ELj64ELN6hipcub18WarpStoreAlgorithmE3EiEvPT3_
	.p2align	8
	.type	_Z17warp_store_kernelILj256ELj16ELj64ELN6hipcub18WarpStoreAlgorithmE3EiEvPT3_,@function
_Z17warp_store_kernelILj256ELj16ELj64ELN6hipcub18WarpStoreAlgorithmE3EiEvPT3_: ; @_Z17warp_store_kernelILj256ELj16ELj64ELN6hipcub18WarpStoreAlgorithmE3EiEvPT3_
; %bb.0:
	v_lshrrev_b32_e32 v0, 6, v0
	s_lshl_b32 s0, s6, 12
	v_mbcnt_lo_u32_b32 v14, -1, 0
	v_mov_b32_e32 v5, 0
	v_mov_b32_e32 v1, 1
	v_lshl_or_b32 v4, v0, 10, s0
	s_load_dwordx2 s[0:1], s[4:5], 0x0
	v_lshlrev_b32_e32 v18, 12, v0
	v_lshlrev_b32_e32 v20, 2, v14
	v_mov_b32_e32 v2, 2
	v_mov_b32_e32 v3, 3
	;; [unrolled: 1-line block ×3, first 2 shown]
	v_lshlrev_b64 v[16:17], 2, v[4:5]
	v_lshl_or_b32 v19, v14, 6, v18
	v_mov_b32_e32 v8, 8
	v_mov_b32_e32 v9, 9
	;; [unrolled: 1-line block ×4, first 2 shown]
	v_or_b32_e32 v18, v18, v20
	v_mov_b32_e32 v4, 4
	v_mov_b32_e32 v5, 5
	;; [unrolled: 1-line block ×8, first 2 shown]
	ds_write_b128 v19, v[0:3]
	ds_write_b128 v19, v[4:7] offset:16
	ds_write_b128 v19, v[8:11] offset:32
	;; [unrolled: 1-line block ×3, first 2 shown]
	; wave barrier
	ds_read2st64_b32 v[0:1], v18 offset1:1
	ds_read2st64_b32 v[2:3], v18 offset0:2 offset1:3
	s_waitcnt lgkmcnt(0)
	v_add_co_u32 v12, vcc_lo, s0, v16
	v_add_co_ci_u32_e64 v13, null, s1, v17, vcc_lo
	ds_read2st64_b32 v[4:5], v18 offset0:4 offset1:5
	ds_read2st64_b32 v[6:7], v18 offset0:6 offset1:7
	;; [unrolled: 1-line block ×6, first 2 shown]
	v_add_co_u32 v12, vcc_lo, v12, v20
	v_add_co_ci_u32_e64 v13, null, 0, v13, vcc_lo
	global_store_dword v[12:13], v0, off
	global_store_dword v[12:13], v1, off offset:256
	global_store_dword v[12:13], v2, off offset:512
	global_store_dword v[12:13], v3, off offset:768
	v_add_co_u32 v0, vcc_lo, 0x800, v12
	v_add_co_ci_u32_e64 v1, null, 0, v13, vcc_lo
	s_waitcnt lgkmcnt(5)
	global_store_dword v[12:13], v4, off offset:1024
	global_store_dword v[12:13], v5, off offset:1280
	s_waitcnt lgkmcnt(4)
	global_store_dword v[12:13], v6, off offset:1536
	global_store_dword v[12:13], v7, off offset:1792
	s_waitcnt lgkmcnt(3)
	global_store_dword v[0:1], v8, off
	global_store_dword v[0:1], v9, off offset:256
	s_waitcnt lgkmcnt(2)
	global_store_dword v[0:1], v10, off offset:512
	global_store_dword v[0:1], v11, off offset:768
	s_waitcnt lgkmcnt(1)
	global_store_dword v[0:1], v14, off offset:1024
	global_store_dword v[0:1], v15, off offset:1280
	s_waitcnt lgkmcnt(0)
	global_store_dword v[0:1], v16, off offset:1536
	global_store_dword v[0:1], v17, off offset:1792
	s_endpgm
	.section	.rodata,"a",@progbits
	.p2align	6, 0x0
	.amdhsa_kernel _Z17warp_store_kernelILj256ELj16ELj64ELN6hipcub18WarpStoreAlgorithmE3EiEvPT3_
		.amdhsa_group_segment_fixed_size 16384
		.amdhsa_private_segment_fixed_size 0
		.amdhsa_kernarg_size 8
		.amdhsa_user_sgpr_count 6
		.amdhsa_user_sgpr_private_segment_buffer 1
		.amdhsa_user_sgpr_dispatch_ptr 0
		.amdhsa_user_sgpr_queue_ptr 0
		.amdhsa_user_sgpr_kernarg_segment_ptr 1
		.amdhsa_user_sgpr_dispatch_id 0
		.amdhsa_user_sgpr_flat_scratch_init 0
		.amdhsa_user_sgpr_private_segment_size 0
		.amdhsa_wavefront_size32 1
		.amdhsa_uses_dynamic_stack 0
		.amdhsa_system_sgpr_private_segment_wavefront_offset 0
		.amdhsa_system_sgpr_workgroup_id_x 1
		.amdhsa_system_sgpr_workgroup_id_y 0
		.amdhsa_system_sgpr_workgroup_id_z 0
		.amdhsa_system_sgpr_workgroup_info 0
		.amdhsa_system_vgpr_workitem_id 0
		.amdhsa_next_free_vgpr 21
		.amdhsa_next_free_sgpr 7
		.amdhsa_reserve_vcc 1
		.amdhsa_reserve_flat_scratch 0
		.amdhsa_float_round_mode_32 0
		.amdhsa_float_round_mode_16_64 0
		.amdhsa_float_denorm_mode_32 3
		.amdhsa_float_denorm_mode_16_64 3
		.amdhsa_dx10_clamp 1
		.amdhsa_ieee_mode 1
		.amdhsa_fp16_overflow 0
		.amdhsa_workgroup_processor_mode 1
		.amdhsa_memory_ordered 1
		.amdhsa_forward_progress 1
		.amdhsa_shared_vgpr_count 0
		.amdhsa_exception_fp_ieee_invalid_op 0
		.amdhsa_exception_fp_denorm_src 0
		.amdhsa_exception_fp_ieee_div_zero 0
		.amdhsa_exception_fp_ieee_overflow 0
		.amdhsa_exception_fp_ieee_underflow 0
		.amdhsa_exception_fp_ieee_inexact 0
		.amdhsa_exception_int_div_zero 0
	.end_amdhsa_kernel
	.section	.text._Z17warp_store_kernelILj256ELj16ELj64ELN6hipcub18WarpStoreAlgorithmE3EiEvPT3_,"axG",@progbits,_Z17warp_store_kernelILj256ELj16ELj64ELN6hipcub18WarpStoreAlgorithmE3EiEvPT3_,comdat
.Lfunc_end48:
	.size	_Z17warp_store_kernelILj256ELj16ELj64ELN6hipcub18WarpStoreAlgorithmE3EiEvPT3_, .Lfunc_end48-_Z17warp_store_kernelILj256ELj16ELj64ELN6hipcub18WarpStoreAlgorithmE3EiEvPT3_
                                        ; -- End function
	.set _Z17warp_store_kernelILj256ELj16ELj64ELN6hipcub18WarpStoreAlgorithmE3EiEvPT3_.num_vgpr, 21
	.set _Z17warp_store_kernelILj256ELj16ELj64ELN6hipcub18WarpStoreAlgorithmE3EiEvPT3_.num_agpr, 0
	.set _Z17warp_store_kernelILj256ELj16ELj64ELN6hipcub18WarpStoreAlgorithmE3EiEvPT3_.numbered_sgpr, 7
	.set _Z17warp_store_kernelILj256ELj16ELj64ELN6hipcub18WarpStoreAlgorithmE3EiEvPT3_.num_named_barrier, 0
	.set _Z17warp_store_kernelILj256ELj16ELj64ELN6hipcub18WarpStoreAlgorithmE3EiEvPT3_.private_seg_size, 0
	.set _Z17warp_store_kernelILj256ELj16ELj64ELN6hipcub18WarpStoreAlgorithmE3EiEvPT3_.uses_vcc, 1
	.set _Z17warp_store_kernelILj256ELj16ELj64ELN6hipcub18WarpStoreAlgorithmE3EiEvPT3_.uses_flat_scratch, 0
	.set _Z17warp_store_kernelILj256ELj16ELj64ELN6hipcub18WarpStoreAlgorithmE3EiEvPT3_.has_dyn_sized_stack, 0
	.set _Z17warp_store_kernelILj256ELj16ELj64ELN6hipcub18WarpStoreAlgorithmE3EiEvPT3_.has_recursion, 0
	.set _Z17warp_store_kernelILj256ELj16ELj64ELN6hipcub18WarpStoreAlgorithmE3EiEvPT3_.has_indirect_call, 0
	.section	.AMDGPU.csdata,"",@progbits
; Kernel info:
; codeLenInByte = 436
; TotalNumSgprs: 9
; NumVgprs: 21
; ScratchSize: 0
; MemoryBound: 1
; FloatMode: 240
; IeeeMode: 1
; LDSByteSize: 16384 bytes/workgroup (compile time only)
; SGPRBlocks: 0
; VGPRBlocks: 2
; NumSGPRsForWavesPerEU: 9
; NumVGPRsForWavesPerEU: 21
; Occupancy: 16
; WaveLimiterHint : 1
; COMPUTE_PGM_RSRC2:SCRATCH_EN: 0
; COMPUTE_PGM_RSRC2:USER_SGPR: 6
; COMPUTE_PGM_RSRC2:TRAP_HANDLER: 0
; COMPUTE_PGM_RSRC2:TGID_X_EN: 1
; COMPUTE_PGM_RSRC2:TGID_Y_EN: 0
; COMPUTE_PGM_RSRC2:TGID_Z_EN: 0
; COMPUTE_PGM_RSRC2:TIDIG_COMP_CNT: 0
	.section	.text._Z17warp_store_kernelILj256ELj32ELj64ELN6hipcub18WarpStoreAlgorithmE0EiEvPT3_,"axG",@progbits,_Z17warp_store_kernelILj256ELj32ELj64ELN6hipcub18WarpStoreAlgorithmE0EiEvPT3_,comdat
	.protected	_Z17warp_store_kernelILj256ELj32ELj64ELN6hipcub18WarpStoreAlgorithmE0EiEvPT3_ ; -- Begin function _Z17warp_store_kernelILj256ELj32ELj64ELN6hipcub18WarpStoreAlgorithmE0EiEvPT3_
	.globl	_Z17warp_store_kernelILj256ELj32ELj64ELN6hipcub18WarpStoreAlgorithmE0EiEvPT3_
	.p2align	8
	.type	_Z17warp_store_kernelILj256ELj32ELj64ELN6hipcub18WarpStoreAlgorithmE0EiEvPT3_,@function
_Z17warp_store_kernelILj256ELj32ELj64ELN6hipcub18WarpStoreAlgorithmE0EiEvPT3_: ; @_Z17warp_store_kernelILj256ELj32ELj64ELN6hipcub18WarpStoreAlgorithmE0EiEvPT3_
; %bb.0:
	s_load_dwordx2 s[0:1], s[4:5], 0x0
	v_lshlrev_b32_e32 v0, 5, v0
	s_lshl_b32 s2, s6, 13
	v_mov_b32_e32 v9, 0
	v_mbcnt_lo_u32_b32 v12, -1, 0
	v_mov_b32_e32 v1, 1
	v_and_or_b32 v8, 0x1800, v0, s2
	v_mov_b32_e32 v2, 2
	v_mov_b32_e32 v3, 3
	v_lshlrev_b32_e32 v12, 7, v12
	v_mov_b32_e32 v0, v9
	v_lshlrev_b64 v[10:11], 2, v[8:9]
	v_mov_b32_e32 v4, 4
	v_mov_b32_e32 v5, 5
	;; [unrolled: 1-line block ×8, first 2 shown]
	s_waitcnt lgkmcnt(0)
	v_add_co_u32 v10, vcc_lo, s0, v10
	v_add_co_ci_u32_e64 v11, null, s1, v11, vcc_lo
	v_mov_b32_e32 v15, 27
	v_add_co_u32 v20, vcc_lo, v10, v12
	v_add_co_ci_u32_e64 v21, null, 0, v11, vcc_lo
	v_mov_b32_e32 v10, 10
	v_mov_b32_e32 v11, 11
	;; [unrolled: 1-line block ×3, first 2 shown]
	global_store_dwordx4 v[20:21], v[0:3], off
	global_store_dwordx4 v[20:21], v[4:7], off offset:16
	global_store_dwordx4 v[20:21], v[8:11], off offset:32
	v_mov_b32_e32 v0, 12
	v_mov_b32_e32 v1, 13
	;; [unrolled: 1-line block ×16, first 2 shown]
	global_store_dwordx4 v[20:21], v[0:3], off offset:48
	global_store_dwordx4 v[20:21], v[4:7], off offset:64
	;; [unrolled: 1-line block ×5, first 2 shown]
	s_endpgm
	.section	.rodata,"a",@progbits
	.p2align	6, 0x0
	.amdhsa_kernel _Z17warp_store_kernelILj256ELj32ELj64ELN6hipcub18WarpStoreAlgorithmE0EiEvPT3_
		.amdhsa_group_segment_fixed_size 0
		.amdhsa_private_segment_fixed_size 0
		.amdhsa_kernarg_size 8
		.amdhsa_user_sgpr_count 6
		.amdhsa_user_sgpr_private_segment_buffer 1
		.amdhsa_user_sgpr_dispatch_ptr 0
		.amdhsa_user_sgpr_queue_ptr 0
		.amdhsa_user_sgpr_kernarg_segment_ptr 1
		.amdhsa_user_sgpr_dispatch_id 0
		.amdhsa_user_sgpr_flat_scratch_init 0
		.amdhsa_user_sgpr_private_segment_size 0
		.amdhsa_wavefront_size32 1
		.amdhsa_uses_dynamic_stack 0
		.amdhsa_system_sgpr_private_segment_wavefront_offset 0
		.amdhsa_system_sgpr_workgroup_id_x 1
		.amdhsa_system_sgpr_workgroup_id_y 0
		.amdhsa_system_sgpr_workgroup_id_z 0
		.amdhsa_system_sgpr_workgroup_info 0
		.amdhsa_system_vgpr_workitem_id 0
		.amdhsa_next_free_vgpr 22
		.amdhsa_next_free_sgpr 7
		.amdhsa_reserve_vcc 1
		.amdhsa_reserve_flat_scratch 0
		.amdhsa_float_round_mode_32 0
		.amdhsa_float_round_mode_16_64 0
		.amdhsa_float_denorm_mode_32 3
		.amdhsa_float_denorm_mode_16_64 3
		.amdhsa_dx10_clamp 1
		.amdhsa_ieee_mode 1
		.amdhsa_fp16_overflow 0
		.amdhsa_workgroup_processor_mode 1
		.amdhsa_memory_ordered 1
		.amdhsa_forward_progress 1
		.amdhsa_shared_vgpr_count 0
		.amdhsa_exception_fp_ieee_invalid_op 0
		.amdhsa_exception_fp_denorm_src 0
		.amdhsa_exception_fp_ieee_div_zero 0
		.amdhsa_exception_fp_ieee_overflow 0
		.amdhsa_exception_fp_ieee_underflow 0
		.amdhsa_exception_fp_ieee_inexact 0
		.amdhsa_exception_int_div_zero 0
	.end_amdhsa_kernel
	.section	.text._Z17warp_store_kernelILj256ELj32ELj64ELN6hipcub18WarpStoreAlgorithmE0EiEvPT3_,"axG",@progbits,_Z17warp_store_kernelILj256ELj32ELj64ELN6hipcub18WarpStoreAlgorithmE0EiEvPT3_,comdat
.Lfunc_end49:
	.size	_Z17warp_store_kernelILj256ELj32ELj64ELN6hipcub18WarpStoreAlgorithmE0EiEvPT3_, .Lfunc_end49-_Z17warp_store_kernelILj256ELj32ELj64ELN6hipcub18WarpStoreAlgorithmE0EiEvPT3_
                                        ; -- End function
	.set _Z17warp_store_kernelILj256ELj32ELj64ELN6hipcub18WarpStoreAlgorithmE0EiEvPT3_.num_vgpr, 22
	.set _Z17warp_store_kernelILj256ELj32ELj64ELN6hipcub18WarpStoreAlgorithmE0EiEvPT3_.num_agpr, 0
	.set _Z17warp_store_kernelILj256ELj32ELj64ELN6hipcub18WarpStoreAlgorithmE0EiEvPT3_.numbered_sgpr, 7
	.set _Z17warp_store_kernelILj256ELj32ELj64ELN6hipcub18WarpStoreAlgorithmE0EiEvPT3_.num_named_barrier, 0
	.set _Z17warp_store_kernelILj256ELj32ELj64ELN6hipcub18WarpStoreAlgorithmE0EiEvPT3_.private_seg_size, 0
	.set _Z17warp_store_kernelILj256ELj32ELj64ELN6hipcub18WarpStoreAlgorithmE0EiEvPT3_.uses_vcc, 1
	.set _Z17warp_store_kernelILj256ELj32ELj64ELN6hipcub18WarpStoreAlgorithmE0EiEvPT3_.uses_flat_scratch, 0
	.set _Z17warp_store_kernelILj256ELj32ELj64ELN6hipcub18WarpStoreAlgorithmE0EiEvPT3_.has_dyn_sized_stack, 0
	.set _Z17warp_store_kernelILj256ELj32ELj64ELN6hipcub18WarpStoreAlgorithmE0EiEvPT3_.has_recursion, 0
	.set _Z17warp_store_kernelILj256ELj32ELj64ELN6hipcub18WarpStoreAlgorithmE0EiEvPT3_.has_indirect_call, 0
	.section	.AMDGPU.csdata,"",@progbits
; Kernel info:
; codeLenInByte = 284
; TotalNumSgprs: 9
; NumVgprs: 22
; ScratchSize: 0
; MemoryBound: 1
; FloatMode: 240
; IeeeMode: 1
; LDSByteSize: 0 bytes/workgroup (compile time only)
; SGPRBlocks: 0
; VGPRBlocks: 2
; NumSGPRsForWavesPerEU: 9
; NumVGPRsForWavesPerEU: 22
; Occupancy: 16
; WaveLimiterHint : 1
; COMPUTE_PGM_RSRC2:SCRATCH_EN: 0
; COMPUTE_PGM_RSRC2:USER_SGPR: 6
; COMPUTE_PGM_RSRC2:TRAP_HANDLER: 0
; COMPUTE_PGM_RSRC2:TGID_X_EN: 1
; COMPUTE_PGM_RSRC2:TGID_Y_EN: 0
; COMPUTE_PGM_RSRC2:TGID_Z_EN: 0
; COMPUTE_PGM_RSRC2:TIDIG_COMP_CNT: 0
	.section	.text._Z17warp_store_kernelILj256ELj32ELj64ELN6hipcub18WarpStoreAlgorithmE1EiEvPT3_,"axG",@progbits,_Z17warp_store_kernelILj256ELj32ELj64ELN6hipcub18WarpStoreAlgorithmE1EiEvPT3_,comdat
	.protected	_Z17warp_store_kernelILj256ELj32ELj64ELN6hipcub18WarpStoreAlgorithmE1EiEvPT3_ ; -- Begin function _Z17warp_store_kernelILj256ELj32ELj64ELN6hipcub18WarpStoreAlgorithmE1EiEvPT3_
	.globl	_Z17warp_store_kernelILj256ELj32ELj64ELN6hipcub18WarpStoreAlgorithmE1EiEvPT3_
	.p2align	8
	.type	_Z17warp_store_kernelILj256ELj32ELj64ELN6hipcub18WarpStoreAlgorithmE1EiEvPT3_,@function
_Z17warp_store_kernelILj256ELj32ELj64ELN6hipcub18WarpStoreAlgorithmE1EiEvPT3_: ; @_Z17warp_store_kernelILj256ELj32ELj64ELN6hipcub18WarpStoreAlgorithmE1EiEvPT3_
; %bb.0:
	s_load_dwordx2 s[0:1], s[4:5], 0x0
	v_lshlrev_b32_e32 v0, 5, v0
	s_lshl_b32 s2, s6, 13
	v_mov_b32_e32 v1, 0
	v_mbcnt_lo_u32_b32 v4, -1, 0
	v_mov_b32_e32 v6, 1
	v_and_or_b32 v0, 0x1800, v0, s2
	v_mov_b32_e32 v5, 2
	v_mov_b32_e32 v7, 4
	v_lshlrev_b32_e32 v4, 2, v4
	v_mov_b32_e32 v8, 6
	v_lshlrev_b64 v[2:3], 2, v[0:1]
	v_mov_b32_e32 v0, 5
	v_mov_b32_e32 v9, 7
	v_mov_b32_e32 v10, 10
	s_waitcnt lgkmcnt(0)
	v_add_co_u32 v2, vcc_lo, s0, v2
	v_add_co_ci_u32_e64 v3, null, s1, v3, vcc_lo
	v_add_co_u32 v2, vcc_lo, v2, v4
	v_add_co_ci_u32_e64 v3, null, 0, v3, vcc_lo
	v_mov_b32_e32 v4, 3
	global_store_dword v[2:3], v1, off
	global_store_dword v[2:3], v6, off offset:256
	global_store_dword v[2:3], v5, off offset:512
	;; [unrolled: 1-line block ×5, first 2 shown]
	v_add_co_u32 v0, vcc_lo, 0x800, v2
	v_add_co_ci_u32_e64 v1, null, 0, v3, vcc_lo
	v_add_co_u32 v4, vcc_lo, v2, 0x1000
	v_mov_b32_e32 v6, 8
	v_add_co_ci_u32_e64 v5, null, 0, v3, vcc_lo
	v_mov_b32_e32 v7, 9
	global_store_dword v[2:3], v8, off offset:1536
	global_store_dword v[2:3], v9, off offset:1792
	global_store_dword v[4:5], v6, off offset:-2048
	global_store_dword v[0:1], v7, off offset:256
	global_store_dword v[0:1], v10, off offset:512
	v_mov_b32_e32 v6, 11
	v_mov_b32_e32 v7, 12
	;; [unrolled: 1-line block ×5, first 2 shown]
	global_store_dword v[0:1], v6, off offset:768
	global_store_dword v[0:1], v7, off offset:1024
	;; [unrolled: 1-line block ×5, first 2 shown]
	v_mov_b32_e32 v6, 16
	v_add_co_u32 v0, vcc_lo, 0x1000, v2
	v_add_co_ci_u32_e64 v1, null, 0, v3, vcc_lo
	global_store_dword v[4:5], v6, off
	v_mov_b32_e32 v4, 17
	v_mov_b32_e32 v5, 18
	;; [unrolled: 1-line block ×5, first 2 shown]
	global_store_dword v[0:1], v4, off offset:256
	global_store_dword v[0:1], v5, off offset:512
	;; [unrolled: 1-line block ×5, first 2 shown]
	v_mov_b32_e32 v4, 22
	v_add_co_u32 v2, vcc_lo, 0x1800, v2
	v_mov_b32_e32 v5, 23
	v_add_co_ci_u32_e64 v3, null, 0, v3, vcc_lo
	v_mov_b32_e32 v6, 24
	v_mov_b32_e32 v7, 25
	;; [unrolled: 1-line block ×3, first 2 shown]
	global_store_dword v[0:1], v4, off offset:1536
	global_store_dword v[0:1], v5, off offset:1792
	global_store_dword v[2:3], v6, off
	global_store_dword v[2:3], v7, off offset:256
	global_store_dword v[2:3], v8, off offset:512
	v_mov_b32_e32 v0, 27
	v_mov_b32_e32 v1, 28
	;; [unrolled: 1-line block ×5, first 2 shown]
	global_store_dword v[2:3], v0, off offset:768
	global_store_dword v[2:3], v1, off offset:1024
	global_store_dword v[2:3], v4, off offset:1280
	global_store_dword v[2:3], v5, off offset:1536
	global_store_dword v[2:3], v6, off offset:1792
	s_endpgm
	.section	.rodata,"a",@progbits
	.p2align	6, 0x0
	.amdhsa_kernel _Z17warp_store_kernelILj256ELj32ELj64ELN6hipcub18WarpStoreAlgorithmE1EiEvPT3_
		.amdhsa_group_segment_fixed_size 0
		.amdhsa_private_segment_fixed_size 0
		.amdhsa_kernarg_size 8
		.amdhsa_user_sgpr_count 6
		.amdhsa_user_sgpr_private_segment_buffer 1
		.amdhsa_user_sgpr_dispatch_ptr 0
		.amdhsa_user_sgpr_queue_ptr 0
		.amdhsa_user_sgpr_kernarg_segment_ptr 1
		.amdhsa_user_sgpr_dispatch_id 0
		.amdhsa_user_sgpr_flat_scratch_init 0
		.amdhsa_user_sgpr_private_segment_size 0
		.amdhsa_wavefront_size32 1
		.amdhsa_uses_dynamic_stack 0
		.amdhsa_system_sgpr_private_segment_wavefront_offset 0
		.amdhsa_system_sgpr_workgroup_id_x 1
		.amdhsa_system_sgpr_workgroup_id_y 0
		.amdhsa_system_sgpr_workgroup_id_z 0
		.amdhsa_system_sgpr_workgroup_info 0
		.amdhsa_system_vgpr_workitem_id 0
		.amdhsa_next_free_vgpr 11
		.amdhsa_next_free_sgpr 7
		.amdhsa_reserve_vcc 1
		.amdhsa_reserve_flat_scratch 0
		.amdhsa_float_round_mode_32 0
		.amdhsa_float_round_mode_16_64 0
		.amdhsa_float_denorm_mode_32 3
		.amdhsa_float_denorm_mode_16_64 3
		.amdhsa_dx10_clamp 1
		.amdhsa_ieee_mode 1
		.amdhsa_fp16_overflow 0
		.amdhsa_workgroup_processor_mode 1
		.amdhsa_memory_ordered 1
		.amdhsa_forward_progress 1
		.amdhsa_shared_vgpr_count 0
		.amdhsa_exception_fp_ieee_invalid_op 0
		.amdhsa_exception_fp_denorm_src 0
		.amdhsa_exception_fp_ieee_div_zero 0
		.amdhsa_exception_fp_ieee_overflow 0
		.amdhsa_exception_fp_ieee_underflow 0
		.amdhsa_exception_fp_ieee_inexact 0
		.amdhsa_exception_int_div_zero 0
	.end_amdhsa_kernel
	.section	.text._Z17warp_store_kernelILj256ELj32ELj64ELN6hipcub18WarpStoreAlgorithmE1EiEvPT3_,"axG",@progbits,_Z17warp_store_kernelILj256ELj32ELj64ELN6hipcub18WarpStoreAlgorithmE1EiEvPT3_,comdat
.Lfunc_end50:
	.size	_Z17warp_store_kernelILj256ELj32ELj64ELN6hipcub18WarpStoreAlgorithmE1EiEvPT3_, .Lfunc_end50-_Z17warp_store_kernelILj256ELj32ELj64ELN6hipcub18WarpStoreAlgorithmE1EiEvPT3_
                                        ; -- End function
	.set _Z17warp_store_kernelILj256ELj32ELj64ELN6hipcub18WarpStoreAlgorithmE1EiEvPT3_.num_vgpr, 11
	.set _Z17warp_store_kernelILj256ELj32ELj64ELN6hipcub18WarpStoreAlgorithmE1EiEvPT3_.num_agpr, 0
	.set _Z17warp_store_kernelILj256ELj32ELj64ELN6hipcub18WarpStoreAlgorithmE1EiEvPT3_.numbered_sgpr, 7
	.set _Z17warp_store_kernelILj256ELj32ELj64ELN6hipcub18WarpStoreAlgorithmE1EiEvPT3_.num_named_barrier, 0
	.set _Z17warp_store_kernelILj256ELj32ELj64ELN6hipcub18WarpStoreAlgorithmE1EiEvPT3_.private_seg_size, 0
	.set _Z17warp_store_kernelILj256ELj32ELj64ELN6hipcub18WarpStoreAlgorithmE1EiEvPT3_.uses_vcc, 1
	.set _Z17warp_store_kernelILj256ELj32ELj64ELN6hipcub18WarpStoreAlgorithmE1EiEvPT3_.uses_flat_scratch, 0
	.set _Z17warp_store_kernelILj256ELj32ELj64ELN6hipcub18WarpStoreAlgorithmE1EiEvPT3_.has_dyn_sized_stack, 0
	.set _Z17warp_store_kernelILj256ELj32ELj64ELN6hipcub18WarpStoreAlgorithmE1EiEvPT3_.has_recursion, 0
	.set _Z17warp_store_kernelILj256ELj32ELj64ELN6hipcub18WarpStoreAlgorithmE1EiEvPT3_.has_indirect_call, 0
	.section	.AMDGPU.csdata,"",@progbits
; Kernel info:
; codeLenInByte = 552
; TotalNumSgprs: 9
; NumVgprs: 11
; ScratchSize: 0
; MemoryBound: 0
; FloatMode: 240
; IeeeMode: 1
; LDSByteSize: 0 bytes/workgroup (compile time only)
; SGPRBlocks: 0
; VGPRBlocks: 1
; NumSGPRsForWavesPerEU: 9
; NumVGPRsForWavesPerEU: 11
; Occupancy: 16
; WaveLimiterHint : 1
; COMPUTE_PGM_RSRC2:SCRATCH_EN: 0
; COMPUTE_PGM_RSRC2:USER_SGPR: 6
; COMPUTE_PGM_RSRC2:TRAP_HANDLER: 0
; COMPUTE_PGM_RSRC2:TGID_X_EN: 1
; COMPUTE_PGM_RSRC2:TGID_Y_EN: 0
; COMPUTE_PGM_RSRC2:TGID_Z_EN: 0
; COMPUTE_PGM_RSRC2:TIDIG_COMP_CNT: 0
	.section	.text._Z17warp_store_kernelILj256ELj32ELj64ELN6hipcub18WarpStoreAlgorithmE2EiEvPT3_,"axG",@progbits,_Z17warp_store_kernelILj256ELj32ELj64ELN6hipcub18WarpStoreAlgorithmE2EiEvPT3_,comdat
	.protected	_Z17warp_store_kernelILj256ELj32ELj64ELN6hipcub18WarpStoreAlgorithmE2EiEvPT3_ ; -- Begin function _Z17warp_store_kernelILj256ELj32ELj64ELN6hipcub18WarpStoreAlgorithmE2EiEvPT3_
	.globl	_Z17warp_store_kernelILj256ELj32ELj64ELN6hipcub18WarpStoreAlgorithmE2EiEvPT3_
	.p2align	8
	.type	_Z17warp_store_kernelILj256ELj32ELj64ELN6hipcub18WarpStoreAlgorithmE2EiEvPT3_,@function
_Z17warp_store_kernelILj256ELj32ELj64ELN6hipcub18WarpStoreAlgorithmE2EiEvPT3_: ; @_Z17warp_store_kernelILj256ELj32ELj64ELN6hipcub18WarpStoreAlgorithmE2EiEvPT3_
; %bb.0:
	s_load_dwordx2 s[0:1], s[4:5], 0x0
	v_lshlrev_b32_e32 v0, 5, v0
	s_lshl_b32 s2, s6, 13
	v_mov_b32_e32 v9, 0
	v_mbcnt_lo_u32_b32 v12, -1, 0
	v_mov_b32_e32 v1, 1
	v_and_or_b32 v8, 0x1800, v0, s2
	v_mov_b32_e32 v2, 2
	v_mov_b32_e32 v3, 3
	v_lshlrev_b32_e32 v12, 7, v12
	v_mov_b32_e32 v0, v9
	v_lshlrev_b64 v[10:11], 2, v[8:9]
	v_mov_b32_e32 v4, 4
	v_mov_b32_e32 v5, 5
	;; [unrolled: 1-line block ×8, first 2 shown]
	s_waitcnt lgkmcnt(0)
	v_add_co_u32 v10, vcc_lo, s0, v10
	v_add_co_ci_u32_e64 v11, null, s1, v11, vcc_lo
	v_mov_b32_e32 v15, 27
	v_add_co_u32 v20, vcc_lo, v10, v12
	v_add_co_ci_u32_e64 v21, null, 0, v11, vcc_lo
	v_mov_b32_e32 v10, 10
	v_mov_b32_e32 v11, 11
	;; [unrolled: 1-line block ×3, first 2 shown]
	global_store_dwordx4 v[20:21], v[0:3], off
	global_store_dwordx4 v[20:21], v[4:7], off offset:16
	global_store_dwordx4 v[20:21], v[8:11], off offset:32
	v_mov_b32_e32 v0, 12
	v_mov_b32_e32 v1, 13
	v_mov_b32_e32 v2, 14
	v_mov_b32_e32 v3, 15
	v_mov_b32_e32 v4, 16
	v_mov_b32_e32 v5, 17
	v_mov_b32_e32 v6, 18
	v_mov_b32_e32 v7, 19
	v_mov_b32_e32 v8, 20
	v_mov_b32_e32 v9, 21
	v_mov_b32_e32 v10, 22
	v_mov_b32_e32 v11, 23
	v_mov_b32_e32 v16, 28
	v_mov_b32_e32 v17, 29
	v_mov_b32_e32 v18, 30
	v_mov_b32_e32 v19, 31
	global_store_dwordx4 v[20:21], v[0:3], off offset:48
	global_store_dwordx4 v[20:21], v[4:7], off offset:64
	;; [unrolled: 1-line block ×5, first 2 shown]
	s_endpgm
	.section	.rodata,"a",@progbits
	.p2align	6, 0x0
	.amdhsa_kernel _Z17warp_store_kernelILj256ELj32ELj64ELN6hipcub18WarpStoreAlgorithmE2EiEvPT3_
		.amdhsa_group_segment_fixed_size 0
		.amdhsa_private_segment_fixed_size 0
		.amdhsa_kernarg_size 8
		.amdhsa_user_sgpr_count 6
		.amdhsa_user_sgpr_private_segment_buffer 1
		.amdhsa_user_sgpr_dispatch_ptr 0
		.amdhsa_user_sgpr_queue_ptr 0
		.amdhsa_user_sgpr_kernarg_segment_ptr 1
		.amdhsa_user_sgpr_dispatch_id 0
		.amdhsa_user_sgpr_flat_scratch_init 0
		.amdhsa_user_sgpr_private_segment_size 0
		.amdhsa_wavefront_size32 1
		.amdhsa_uses_dynamic_stack 0
		.amdhsa_system_sgpr_private_segment_wavefront_offset 0
		.amdhsa_system_sgpr_workgroup_id_x 1
		.amdhsa_system_sgpr_workgroup_id_y 0
		.amdhsa_system_sgpr_workgroup_id_z 0
		.amdhsa_system_sgpr_workgroup_info 0
		.amdhsa_system_vgpr_workitem_id 0
		.amdhsa_next_free_vgpr 22
		.amdhsa_next_free_sgpr 7
		.amdhsa_reserve_vcc 1
		.amdhsa_reserve_flat_scratch 0
		.amdhsa_float_round_mode_32 0
		.amdhsa_float_round_mode_16_64 0
		.amdhsa_float_denorm_mode_32 3
		.amdhsa_float_denorm_mode_16_64 3
		.amdhsa_dx10_clamp 1
		.amdhsa_ieee_mode 1
		.amdhsa_fp16_overflow 0
		.amdhsa_workgroup_processor_mode 1
		.amdhsa_memory_ordered 1
		.amdhsa_forward_progress 1
		.amdhsa_shared_vgpr_count 0
		.amdhsa_exception_fp_ieee_invalid_op 0
		.amdhsa_exception_fp_denorm_src 0
		.amdhsa_exception_fp_ieee_div_zero 0
		.amdhsa_exception_fp_ieee_overflow 0
		.amdhsa_exception_fp_ieee_underflow 0
		.amdhsa_exception_fp_ieee_inexact 0
		.amdhsa_exception_int_div_zero 0
	.end_amdhsa_kernel
	.section	.text._Z17warp_store_kernelILj256ELj32ELj64ELN6hipcub18WarpStoreAlgorithmE2EiEvPT3_,"axG",@progbits,_Z17warp_store_kernelILj256ELj32ELj64ELN6hipcub18WarpStoreAlgorithmE2EiEvPT3_,comdat
.Lfunc_end51:
	.size	_Z17warp_store_kernelILj256ELj32ELj64ELN6hipcub18WarpStoreAlgorithmE2EiEvPT3_, .Lfunc_end51-_Z17warp_store_kernelILj256ELj32ELj64ELN6hipcub18WarpStoreAlgorithmE2EiEvPT3_
                                        ; -- End function
	.set _Z17warp_store_kernelILj256ELj32ELj64ELN6hipcub18WarpStoreAlgorithmE2EiEvPT3_.num_vgpr, 22
	.set _Z17warp_store_kernelILj256ELj32ELj64ELN6hipcub18WarpStoreAlgorithmE2EiEvPT3_.num_agpr, 0
	.set _Z17warp_store_kernelILj256ELj32ELj64ELN6hipcub18WarpStoreAlgorithmE2EiEvPT3_.numbered_sgpr, 7
	.set _Z17warp_store_kernelILj256ELj32ELj64ELN6hipcub18WarpStoreAlgorithmE2EiEvPT3_.num_named_barrier, 0
	.set _Z17warp_store_kernelILj256ELj32ELj64ELN6hipcub18WarpStoreAlgorithmE2EiEvPT3_.private_seg_size, 0
	.set _Z17warp_store_kernelILj256ELj32ELj64ELN6hipcub18WarpStoreAlgorithmE2EiEvPT3_.uses_vcc, 1
	.set _Z17warp_store_kernelILj256ELj32ELj64ELN6hipcub18WarpStoreAlgorithmE2EiEvPT3_.uses_flat_scratch, 0
	.set _Z17warp_store_kernelILj256ELj32ELj64ELN6hipcub18WarpStoreAlgorithmE2EiEvPT3_.has_dyn_sized_stack, 0
	.set _Z17warp_store_kernelILj256ELj32ELj64ELN6hipcub18WarpStoreAlgorithmE2EiEvPT3_.has_recursion, 0
	.set _Z17warp_store_kernelILj256ELj32ELj64ELN6hipcub18WarpStoreAlgorithmE2EiEvPT3_.has_indirect_call, 0
	.section	.AMDGPU.csdata,"",@progbits
; Kernel info:
; codeLenInByte = 284
; TotalNumSgprs: 9
; NumVgprs: 22
; ScratchSize: 0
; MemoryBound: 1
; FloatMode: 240
; IeeeMode: 1
; LDSByteSize: 0 bytes/workgroup (compile time only)
; SGPRBlocks: 0
; VGPRBlocks: 2
; NumSGPRsForWavesPerEU: 9
; NumVGPRsForWavesPerEU: 22
; Occupancy: 16
; WaveLimiterHint : 1
; COMPUTE_PGM_RSRC2:SCRATCH_EN: 0
; COMPUTE_PGM_RSRC2:USER_SGPR: 6
; COMPUTE_PGM_RSRC2:TRAP_HANDLER: 0
; COMPUTE_PGM_RSRC2:TGID_X_EN: 1
; COMPUTE_PGM_RSRC2:TGID_Y_EN: 0
; COMPUTE_PGM_RSRC2:TGID_Z_EN: 0
; COMPUTE_PGM_RSRC2:TIDIG_COMP_CNT: 0
	.section	.text._Z17warp_store_kernelILj256ELj32ELj64ELN6hipcub18WarpStoreAlgorithmE3EiEvPT3_,"axG",@progbits,_Z17warp_store_kernelILj256ELj32ELj64ELN6hipcub18WarpStoreAlgorithmE3EiEvPT3_,comdat
	.protected	_Z17warp_store_kernelILj256ELj32ELj64ELN6hipcub18WarpStoreAlgorithmE3EiEvPT3_ ; -- Begin function _Z17warp_store_kernelILj256ELj32ELj64ELN6hipcub18WarpStoreAlgorithmE3EiEvPT3_
	.globl	_Z17warp_store_kernelILj256ELj32ELj64ELN6hipcub18WarpStoreAlgorithmE3EiEvPT3_
	.p2align	8
	.type	_Z17warp_store_kernelILj256ELj32ELj64ELN6hipcub18WarpStoreAlgorithmE3EiEvPT3_,@function
_Z17warp_store_kernelILj256ELj32ELj64ELN6hipcub18WarpStoreAlgorithmE3EiEvPT3_: ; @_Z17warp_store_kernelILj256ELj32ELj64ELN6hipcub18WarpStoreAlgorithmE3EiEvPT3_
; %bb.0:
	s_load_dwordx2 s[0:1], s[4:5], 0x0
	v_lshrrev_b32_e32 v0, 6, v0
	s_lshl_b32 s2, s6, 13
	v_mbcnt_lo_u32_b32 v18, -1, 0
	v_mov_b32_e32 v5, 0
	v_mov_b32_e32 v1, 1
	v_lshlrev_b32_e32 v19, 13, v0
	v_lshl_or_b32 v4, v0, 11, s2
	v_mov_b32_e32 v2, 2
	v_mov_b32_e32 v3, 3
	;; [unrolled: 1-line block ×3, first 2 shown]
	v_lshl_or_b32 v20, v18, 7, v19
	v_lshlrev_b32_e32 v26, 2, v18
	v_lshlrev_b64 v[16:17], 2, v[4:5]
	v_mov_b32_e32 v4, 4
	v_mov_b32_e32 v5, 5
	;; [unrolled: 1-line block ×12, first 2 shown]
	ds_write_b128 v20, v[0:3]
	ds_write_b128 v20, v[4:7] offset:16
	ds_write_b128 v20, v[8:11] offset:32
	;; [unrolled: 1-line block ×3, first 2 shown]
	v_mov_b32_e32 v0, 16
	v_mov_b32_e32 v1, 17
	;; [unrolled: 1-line block ×8, first 2 shown]
	v_or_b32_e32 v32, v19, v26
	v_mov_b32_e32 v4, 20
	v_mov_b32_e32 v5, 21
	;; [unrolled: 1-line block ×8, first 2 shown]
	s_waitcnt lgkmcnt(0)
	v_add_co_u32 v24, vcc_lo, s0, v16
	v_add_co_ci_u32_e64 v25, null, s1, v17, vcc_lo
	ds_write_b128 v20, v[0:3] offset:64
	ds_write_b128 v20, v[4:7] offset:80
	;; [unrolled: 1-line block ×4, first 2 shown]
	; wave barrier
	ds_read2st64_b32 v[0:1], v32 offset1:1
	ds_read2st64_b32 v[2:3], v32 offset0:2 offset1:3
	ds_read2st64_b32 v[4:5], v32 offset0:4 offset1:5
	ds_read2st64_b32 v[6:7], v32 offset0:6 offset1:7
	ds_read2st64_b32 v[8:9], v32 offset0:8 offset1:9
	ds_read2st64_b32 v[10:11], v32 offset0:10 offset1:11
	ds_read2st64_b32 v[12:13], v32 offset0:12 offset1:13
	ds_read2st64_b32 v[14:15], v32 offset0:14 offset1:15
	ds_read2st64_b32 v[16:17], v32 offset0:16 offset1:17
	ds_read2st64_b32 v[18:19], v32 offset0:18 offset1:19
	ds_read2st64_b32 v[20:21], v32 offset0:20 offset1:21
	ds_read2st64_b32 v[22:23], v32 offset0:22 offset1:23
	v_add_co_u32 v24, vcc_lo, v24, v26
	ds_read2st64_b32 v[26:27], v32 offset0:24 offset1:25
	ds_read2st64_b32 v[28:29], v32 offset0:26 offset1:27
	;; [unrolled: 1-line block ×4, first 2 shown]
	v_add_co_ci_u32_e64 v25, null, 0, v25, vcc_lo
	s_waitcnt lgkmcnt(15)
	global_store_dword v[24:25], v0, off
	global_store_dword v[24:25], v1, off offset:256
	s_waitcnt lgkmcnt(14)
	global_store_dword v[24:25], v2, off offset:512
	global_store_dword v[24:25], v3, off offset:768
	s_waitcnt lgkmcnt(13)
	global_store_dword v[24:25], v4, off offset:1024
	v_add_co_u32 v0, vcc_lo, v24, 0x1000
	v_add_co_ci_u32_e64 v1, null, 0, v25, vcc_lo
	v_add_co_u32 v2, vcc_lo, 0x800, v24
	v_add_co_ci_u32_e64 v3, null, 0, v25, vcc_lo
	v_add_co_u32 v4, vcc_lo, 0x1000, v24
	global_store_dword v[24:25], v5, off offset:1280
	s_waitcnt lgkmcnt(12)
	global_store_dword v[24:25], v6, off offset:1536
	global_store_dword v[24:25], v7, off offset:1792
	s_waitcnt lgkmcnt(11)
	global_store_dword v[0:1], v8, off offset:-2048
	global_store_dword v[2:3], v9, off offset:256
	s_waitcnt lgkmcnt(10)
	global_store_dword v[2:3], v10, off offset:512
	global_store_dword v[2:3], v11, off offset:768
	s_waitcnt lgkmcnt(9)
	global_store_dword v[2:3], v12, off offset:1024
	v_add_co_ci_u32_e64 v5, null, 0, v25, vcc_lo
	global_store_dword v[2:3], v13, off offset:1280
	s_waitcnt lgkmcnt(8)
	global_store_dword v[2:3], v14, off offset:1536
	global_store_dword v[2:3], v15, off offset:1792
	s_waitcnt lgkmcnt(7)
	global_store_dword v[0:1], v16, off
	global_store_dword v[4:5], v17, off offset:256
	s_waitcnt lgkmcnt(6)
	global_store_dword v[4:5], v18, off offset:512
	global_store_dword v[4:5], v19, off offset:768
	v_add_co_u32 v0, vcc_lo, 0x1800, v24
	v_add_co_ci_u32_e64 v1, null, 0, v25, vcc_lo
	s_waitcnt lgkmcnt(5)
	global_store_dword v[4:5], v20, off offset:1024
	global_store_dword v[4:5], v21, off offset:1280
	s_waitcnt lgkmcnt(4)
	global_store_dword v[4:5], v22, off offset:1536
	global_store_dword v[4:5], v23, off offset:1792
	s_waitcnt lgkmcnt(3)
	global_store_dword v[0:1], v26, off
	global_store_dword v[0:1], v27, off offset:256
	s_waitcnt lgkmcnt(2)
	global_store_dword v[0:1], v28, off offset:512
	global_store_dword v[0:1], v29, off offset:768
	s_waitcnt lgkmcnt(1)
	global_store_dword v[0:1], v30, off offset:1024
	;; [unrolled: 3-line block ×3, first 2 shown]
	global_store_dword v[0:1], v33, off offset:1792
	s_endpgm
	.section	.rodata,"a",@progbits
	.p2align	6, 0x0
	.amdhsa_kernel _Z17warp_store_kernelILj256ELj32ELj64ELN6hipcub18WarpStoreAlgorithmE3EiEvPT3_
		.amdhsa_group_segment_fixed_size 32768
		.amdhsa_private_segment_fixed_size 0
		.amdhsa_kernarg_size 8
		.amdhsa_user_sgpr_count 6
		.amdhsa_user_sgpr_private_segment_buffer 1
		.amdhsa_user_sgpr_dispatch_ptr 0
		.amdhsa_user_sgpr_queue_ptr 0
		.amdhsa_user_sgpr_kernarg_segment_ptr 1
		.amdhsa_user_sgpr_dispatch_id 0
		.amdhsa_user_sgpr_flat_scratch_init 0
		.amdhsa_user_sgpr_private_segment_size 0
		.amdhsa_wavefront_size32 1
		.amdhsa_uses_dynamic_stack 0
		.amdhsa_system_sgpr_private_segment_wavefront_offset 0
		.amdhsa_system_sgpr_workgroup_id_x 1
		.amdhsa_system_sgpr_workgroup_id_y 0
		.amdhsa_system_sgpr_workgroup_id_z 0
		.amdhsa_system_sgpr_workgroup_info 0
		.amdhsa_system_vgpr_workitem_id 0
		.amdhsa_next_free_vgpr 113
		.amdhsa_next_free_sgpr 7
		.amdhsa_reserve_vcc 1
		.amdhsa_reserve_flat_scratch 0
		.amdhsa_float_round_mode_32 0
		.amdhsa_float_round_mode_16_64 0
		.amdhsa_float_denorm_mode_32 3
		.amdhsa_float_denorm_mode_16_64 3
		.amdhsa_dx10_clamp 1
		.amdhsa_ieee_mode 1
		.amdhsa_fp16_overflow 0
		.amdhsa_workgroup_processor_mode 1
		.amdhsa_memory_ordered 1
		.amdhsa_forward_progress 1
		.amdhsa_shared_vgpr_count 0
		.amdhsa_exception_fp_ieee_invalid_op 0
		.amdhsa_exception_fp_denorm_src 0
		.amdhsa_exception_fp_ieee_div_zero 0
		.amdhsa_exception_fp_ieee_overflow 0
		.amdhsa_exception_fp_ieee_underflow 0
		.amdhsa_exception_fp_ieee_inexact 0
		.amdhsa_exception_int_div_zero 0
	.end_amdhsa_kernel
	.section	.text._Z17warp_store_kernelILj256ELj32ELj64ELN6hipcub18WarpStoreAlgorithmE3EiEvPT3_,"axG",@progbits,_Z17warp_store_kernelILj256ELj32ELj64ELN6hipcub18WarpStoreAlgorithmE3EiEvPT3_,comdat
.Lfunc_end52:
	.size	_Z17warp_store_kernelILj256ELj32ELj64ELN6hipcub18WarpStoreAlgorithmE3EiEvPT3_, .Lfunc_end52-_Z17warp_store_kernelILj256ELj32ELj64ELN6hipcub18WarpStoreAlgorithmE3EiEvPT3_
                                        ; -- End function
	.set _Z17warp_store_kernelILj256ELj32ELj64ELN6hipcub18WarpStoreAlgorithmE3EiEvPT3_.num_vgpr, 34
	.set _Z17warp_store_kernelILj256ELj32ELj64ELN6hipcub18WarpStoreAlgorithmE3EiEvPT3_.num_agpr, 0
	.set _Z17warp_store_kernelILj256ELj32ELj64ELN6hipcub18WarpStoreAlgorithmE3EiEvPT3_.numbered_sgpr, 7
	.set _Z17warp_store_kernelILj256ELj32ELj64ELN6hipcub18WarpStoreAlgorithmE3EiEvPT3_.num_named_barrier, 0
	.set _Z17warp_store_kernelILj256ELj32ELj64ELN6hipcub18WarpStoreAlgorithmE3EiEvPT3_.private_seg_size, 0
	.set _Z17warp_store_kernelILj256ELj32ELj64ELN6hipcub18WarpStoreAlgorithmE3EiEvPT3_.uses_vcc, 1
	.set _Z17warp_store_kernelILj256ELj32ELj64ELN6hipcub18WarpStoreAlgorithmE3EiEvPT3_.uses_flat_scratch, 0
	.set _Z17warp_store_kernelILj256ELj32ELj64ELN6hipcub18WarpStoreAlgorithmE3EiEvPT3_.has_dyn_sized_stack, 0
	.set _Z17warp_store_kernelILj256ELj32ELj64ELN6hipcub18WarpStoreAlgorithmE3EiEvPT3_.has_recursion, 0
	.set _Z17warp_store_kernelILj256ELj32ELj64ELN6hipcub18WarpStoreAlgorithmE3EiEvPT3_.has_indirect_call, 0
	.section	.AMDGPU.csdata,"",@progbits
; Kernel info:
; codeLenInByte = 824
; TotalNumSgprs: 9
; NumVgprs: 34
; ScratchSize: 0
; MemoryBound: 1
; FloatMode: 240
; IeeeMode: 1
; LDSByteSize: 32768 bytes/workgroup (compile time only)
; SGPRBlocks: 0
; VGPRBlocks: 14
; NumSGPRsForWavesPerEU: 9
; NumVGPRsForWavesPerEU: 113
; Occupancy: 8
; WaveLimiterHint : 1
; COMPUTE_PGM_RSRC2:SCRATCH_EN: 0
; COMPUTE_PGM_RSRC2:USER_SGPR: 6
; COMPUTE_PGM_RSRC2:TRAP_HANDLER: 0
; COMPUTE_PGM_RSRC2:TGID_X_EN: 1
; COMPUTE_PGM_RSRC2:TGID_Y_EN: 0
; COMPUTE_PGM_RSRC2:TGID_Z_EN: 0
; COMPUTE_PGM_RSRC2:TIDIG_COMP_CNT: 0
	.section	.text._Z17warp_store_kernelILj256ELj64ELj64ELN6hipcub18WarpStoreAlgorithmE0EiEvPT3_,"axG",@progbits,_Z17warp_store_kernelILj256ELj64ELj64ELN6hipcub18WarpStoreAlgorithmE0EiEvPT3_,comdat
	.protected	_Z17warp_store_kernelILj256ELj64ELj64ELN6hipcub18WarpStoreAlgorithmE0EiEvPT3_ ; -- Begin function _Z17warp_store_kernelILj256ELj64ELj64ELN6hipcub18WarpStoreAlgorithmE0EiEvPT3_
	.globl	_Z17warp_store_kernelILj256ELj64ELj64ELN6hipcub18WarpStoreAlgorithmE0EiEvPT3_
	.p2align	8
	.type	_Z17warp_store_kernelILj256ELj64ELj64ELN6hipcub18WarpStoreAlgorithmE0EiEvPT3_,@function
_Z17warp_store_kernelILj256ELj64ELj64ELN6hipcub18WarpStoreAlgorithmE0EiEvPT3_: ; @_Z17warp_store_kernelILj256ELj64ELj64ELN6hipcub18WarpStoreAlgorithmE0EiEvPT3_
; %bb.0:
	s_load_dwordx2 s[0:1], s[4:5], 0x0
	v_lshlrev_b32_e32 v0, 6, v0
	s_lshl_b32 s2, s6, 14
	v_mov_b32_e32 v9, 0
	v_mbcnt_lo_u32_b32 v12, -1, 0
	v_mov_b32_e32 v1, 1
	v_and_or_b32 v8, 0x3000, v0, s2
	v_mov_b32_e32 v2, 2
	v_mov_b32_e32 v3, 3
	v_lshlrev_b32_e32 v12, 8, v12
	v_mov_b32_e32 v0, v9
	v_lshlrev_b64 v[10:11], 2, v[8:9]
	v_mov_b32_e32 v4, 4
	v_mov_b32_e32 v5, 5
	;; [unrolled: 1-line block ×8, first 2 shown]
	s_waitcnt lgkmcnt(0)
	v_add_co_u32 v10, vcc_lo, s0, v10
	v_add_co_ci_u32_e64 v11, null, s1, v11, vcc_lo
	v_mov_b32_e32 v15, 15
	v_add_co_u32 v20, vcc_lo, v10, v12
	v_add_co_ci_u32_e64 v21, null, 0, v11, vcc_lo
	v_mov_b32_e32 v10, 10
	v_mov_b32_e32 v11, 11
	;; [unrolled: 1-line block ×3, first 2 shown]
	global_store_dwordx4 v[20:21], v[0:3], off
	v_mov_b32_e32 v0, 16
	v_mov_b32_e32 v1, 17
	;; [unrolled: 1-line block ×8, first 2 shown]
	global_store_dwordx4 v[20:21], v[4:7], off offset:16
	global_store_dwordx4 v[20:21], v[8:11], off offset:32
	;; [unrolled: 1-line block ×5, first 2 shown]
	v_mov_b32_e32 v0, 24
	v_mov_b32_e32 v1, 25
	;; [unrolled: 1-line block ×20, first 2 shown]
	global_store_dwordx4 v[20:21], v[0:3], off offset:96
	global_store_dwordx4 v[20:21], v[4:7], off offset:112
	;; [unrolled: 1-line block ×5, first 2 shown]
	v_mov_b32_e32 v0, 44
	v_mov_b32_e32 v1, 45
	;; [unrolled: 1-line block ×20, first 2 shown]
	global_store_dwordx4 v[20:21], v[0:3], off offset:176
	global_store_dwordx4 v[20:21], v[4:7], off offset:192
	;; [unrolled: 1-line block ×5, first 2 shown]
	s_endpgm
	.section	.rodata,"a",@progbits
	.p2align	6, 0x0
	.amdhsa_kernel _Z17warp_store_kernelILj256ELj64ELj64ELN6hipcub18WarpStoreAlgorithmE0EiEvPT3_
		.amdhsa_group_segment_fixed_size 0
		.amdhsa_private_segment_fixed_size 0
		.amdhsa_kernarg_size 8
		.amdhsa_user_sgpr_count 6
		.amdhsa_user_sgpr_private_segment_buffer 1
		.amdhsa_user_sgpr_dispatch_ptr 0
		.amdhsa_user_sgpr_queue_ptr 0
		.amdhsa_user_sgpr_kernarg_segment_ptr 1
		.amdhsa_user_sgpr_dispatch_id 0
		.amdhsa_user_sgpr_flat_scratch_init 0
		.amdhsa_user_sgpr_private_segment_size 0
		.amdhsa_wavefront_size32 1
		.amdhsa_uses_dynamic_stack 0
		.amdhsa_system_sgpr_private_segment_wavefront_offset 0
		.amdhsa_system_sgpr_workgroup_id_x 1
		.amdhsa_system_sgpr_workgroup_id_y 0
		.amdhsa_system_sgpr_workgroup_id_z 0
		.amdhsa_system_sgpr_workgroup_info 0
		.amdhsa_system_vgpr_workitem_id 0
		.amdhsa_next_free_vgpr 22
		.amdhsa_next_free_sgpr 7
		.amdhsa_reserve_vcc 1
		.amdhsa_reserve_flat_scratch 0
		.amdhsa_float_round_mode_32 0
		.amdhsa_float_round_mode_16_64 0
		.amdhsa_float_denorm_mode_32 3
		.amdhsa_float_denorm_mode_16_64 3
		.amdhsa_dx10_clamp 1
		.amdhsa_ieee_mode 1
		.amdhsa_fp16_overflow 0
		.amdhsa_workgroup_processor_mode 1
		.amdhsa_memory_ordered 1
		.amdhsa_forward_progress 1
		.amdhsa_shared_vgpr_count 0
		.amdhsa_exception_fp_ieee_invalid_op 0
		.amdhsa_exception_fp_denorm_src 0
		.amdhsa_exception_fp_ieee_div_zero 0
		.amdhsa_exception_fp_ieee_overflow 0
		.amdhsa_exception_fp_ieee_underflow 0
		.amdhsa_exception_fp_ieee_inexact 0
		.amdhsa_exception_int_div_zero 0
	.end_amdhsa_kernel
	.section	.text._Z17warp_store_kernelILj256ELj64ELj64ELN6hipcub18WarpStoreAlgorithmE0EiEvPT3_,"axG",@progbits,_Z17warp_store_kernelILj256ELj64ELj64ELN6hipcub18WarpStoreAlgorithmE0EiEvPT3_,comdat
.Lfunc_end53:
	.size	_Z17warp_store_kernelILj256ELj64ELj64ELN6hipcub18WarpStoreAlgorithmE0EiEvPT3_, .Lfunc_end53-_Z17warp_store_kernelILj256ELj64ELj64ELN6hipcub18WarpStoreAlgorithmE0EiEvPT3_
                                        ; -- End function
	.set _Z17warp_store_kernelILj256ELj64ELj64ELN6hipcub18WarpStoreAlgorithmE0EiEvPT3_.num_vgpr, 22
	.set _Z17warp_store_kernelILj256ELj64ELj64ELN6hipcub18WarpStoreAlgorithmE0EiEvPT3_.num_agpr, 0
	.set _Z17warp_store_kernelILj256ELj64ELj64ELN6hipcub18WarpStoreAlgorithmE0EiEvPT3_.numbered_sgpr, 7
	.set _Z17warp_store_kernelILj256ELj64ELj64ELN6hipcub18WarpStoreAlgorithmE0EiEvPT3_.num_named_barrier, 0
	.set _Z17warp_store_kernelILj256ELj64ELj64ELN6hipcub18WarpStoreAlgorithmE0EiEvPT3_.private_seg_size, 0
	.set _Z17warp_store_kernelILj256ELj64ELj64ELN6hipcub18WarpStoreAlgorithmE0EiEvPT3_.uses_vcc, 1
	.set _Z17warp_store_kernelILj256ELj64ELj64ELN6hipcub18WarpStoreAlgorithmE0EiEvPT3_.uses_flat_scratch, 0
	.set _Z17warp_store_kernelILj256ELj64ELj64ELN6hipcub18WarpStoreAlgorithmE0EiEvPT3_.has_dyn_sized_stack, 0
	.set _Z17warp_store_kernelILj256ELj64ELj64ELN6hipcub18WarpStoreAlgorithmE0EiEvPT3_.has_recursion, 0
	.set _Z17warp_store_kernelILj256ELj64ELj64ELN6hipcub18WarpStoreAlgorithmE0EiEvPT3_.has_indirect_call, 0
	.section	.AMDGPU.csdata,"",@progbits
; Kernel info:
; codeLenInByte = 476
; TotalNumSgprs: 9
; NumVgprs: 22
; ScratchSize: 0
; MemoryBound: 1
; FloatMode: 240
; IeeeMode: 1
; LDSByteSize: 0 bytes/workgroup (compile time only)
; SGPRBlocks: 0
; VGPRBlocks: 2
; NumSGPRsForWavesPerEU: 9
; NumVGPRsForWavesPerEU: 22
; Occupancy: 16
; WaveLimiterHint : 1
; COMPUTE_PGM_RSRC2:SCRATCH_EN: 0
; COMPUTE_PGM_RSRC2:USER_SGPR: 6
; COMPUTE_PGM_RSRC2:TRAP_HANDLER: 0
; COMPUTE_PGM_RSRC2:TGID_X_EN: 1
; COMPUTE_PGM_RSRC2:TGID_Y_EN: 0
; COMPUTE_PGM_RSRC2:TGID_Z_EN: 0
; COMPUTE_PGM_RSRC2:TIDIG_COMP_CNT: 0
	.section	.text._Z17warp_store_kernelILj256ELj64ELj64ELN6hipcub18WarpStoreAlgorithmE1EiEvPT3_,"axG",@progbits,_Z17warp_store_kernelILj256ELj64ELj64ELN6hipcub18WarpStoreAlgorithmE1EiEvPT3_,comdat
	.protected	_Z17warp_store_kernelILj256ELj64ELj64ELN6hipcub18WarpStoreAlgorithmE1EiEvPT3_ ; -- Begin function _Z17warp_store_kernelILj256ELj64ELj64ELN6hipcub18WarpStoreAlgorithmE1EiEvPT3_
	.globl	_Z17warp_store_kernelILj256ELj64ELj64ELN6hipcub18WarpStoreAlgorithmE1EiEvPT3_
	.p2align	8
	.type	_Z17warp_store_kernelILj256ELj64ELj64ELN6hipcub18WarpStoreAlgorithmE1EiEvPT3_,@function
_Z17warp_store_kernelILj256ELj64ELj64ELN6hipcub18WarpStoreAlgorithmE1EiEvPT3_: ; @_Z17warp_store_kernelILj256ELj64ELj64ELN6hipcub18WarpStoreAlgorithmE1EiEvPT3_
; %bb.0:
	s_load_dwordx2 s[0:1], s[4:5], 0x0
	v_lshlrev_b32_e32 v0, 6, v0
	s_lshl_b32 s2, s6, 14
	v_mov_b32_e32 v1, 0
	v_mbcnt_lo_u32_b32 v4, -1, 0
	v_mov_b32_e32 v5, 1
	v_and_or_b32 v0, 0x3000, v0, s2
	v_mov_b32_e32 v7, 4
	v_mov_b32_e32 v8, 5
	v_lshlrev_b32_e32 v4, 2, v4
	v_mov_b32_e32 v6, 6
	v_lshlrev_b64 v[2:3], 2, v[0:1]
	v_mov_b32_e32 v0, 2
	v_mov_b32_e32 v9, 7
	;; [unrolled: 1-line block ×5, first 2 shown]
	s_waitcnt lgkmcnt(0)
	v_add_co_u32 v2, vcc_lo, s0, v2
	v_add_co_ci_u32_e64 v3, null, s1, v3, vcc_lo
	v_add_co_u32 v2, vcc_lo, v2, v4
	v_add_co_ci_u32_e64 v3, null, 0, v3, vcc_lo
	v_mov_b32_e32 v4, 3
	global_store_dword v[2:3], v1, off
	global_store_dword v[2:3], v5, off offset:256
	global_store_dword v[2:3], v0, off offset:512
	;; [unrolled: 1-line block ×5, first 2 shown]
	v_add_co_u32 v0, vcc_lo, 0x800, v2
	v_add_co_ci_u32_e64 v1, null, 0, v3, vcc_lo
	v_add_co_u32 v4, vcc_lo, v2, 0x1000
	v_mov_b32_e32 v7, 8
	v_add_co_ci_u32_e64 v5, null, 0, v3, vcc_lo
	v_mov_b32_e32 v8, 9
	global_store_dword v[2:3], v6, off offset:1536
	global_store_dword v[2:3], v9, off offset:1792
	global_store_dword v[4:5], v7, off offset:-2048
	global_store_dword v[0:1], v8, off offset:256
	global_store_dword v[0:1], v10, off offset:512
	v_mov_b32_e32 v6, 11
	v_mov_b32_e32 v7, 12
	v_mov_b32_e32 v8, 13
	v_mov_b32_e32 v9, 14
	v_mov_b32_e32 v10, 15
	global_store_dword v[0:1], v6, off offset:768
	global_store_dword v[0:1], v7, off offset:1024
	;; [unrolled: 1-line block ×5, first 2 shown]
	v_mov_b32_e32 v6, 16
	v_add_co_u32 v0, vcc_lo, 0x1000, v2
	v_add_co_ci_u32_e64 v1, null, 0, v3, vcc_lo
	global_store_dword v[4:5], v6, off
	v_mov_b32_e32 v4, 17
	v_mov_b32_e32 v5, 18
	;; [unrolled: 1-line block ×5, first 2 shown]
	global_store_dword v[0:1], v4, off offset:256
	global_store_dword v[0:1], v5, off offset:512
	;; [unrolled: 1-line block ×5, first 2 shown]
	v_add_co_u32 v4, vcc_lo, 0x1800, v2
	v_mov_b32_e32 v8, 22
	v_add_co_ci_u32_e64 v5, null, 0, v3, vcc_lo
	v_add_co_u32 v6, vcc_lo, v2, 0x2000
	v_mov_b32_e32 v9, 23
	v_mov_b32_e32 v10, 24
	v_add_co_ci_u32_e64 v7, null, 0, v3, vcc_lo
	global_store_dword v[0:1], v8, off offset:1536
	global_store_dword v[0:1], v9, off offset:1792
	global_store_dword v[6:7], v10, off offset:-2048
	global_store_dword v[4:5], v11, off offset:256
	global_store_dword v[4:5], v12, off offset:512
	v_mov_b32_e32 v0, 27
	v_mov_b32_e32 v1, 28
	;; [unrolled: 1-line block ×5, first 2 shown]
	global_store_dword v[4:5], v0, off offset:768
	global_store_dword v[4:5], v1, off offset:1024
	;; [unrolled: 1-line block ×5, first 2 shown]
	v_mov_b32_e32 v4, 32
	v_add_co_u32 v0, vcc_lo, 0x2000, v2
	v_add_co_ci_u32_e64 v1, null, 0, v3, vcc_lo
	global_store_dword v[6:7], v4, off
	v_mov_b32_e32 v4, 33
	v_mov_b32_e32 v5, 34
	;; [unrolled: 1-line block ×5, first 2 shown]
	global_store_dword v[0:1], v4, off offset:256
	global_store_dword v[0:1], v5, off offset:512
	;; [unrolled: 1-line block ×5, first 2 shown]
	v_add_co_u32 v4, vcc_lo, 0x2800, v2
	v_mov_b32_e32 v8, 38
	v_add_co_ci_u32_e64 v5, null, 0, v3, vcc_lo
	v_add_co_u32 v6, vcc_lo, v2, 0x3000
	v_mov_b32_e32 v9, 39
	v_mov_b32_e32 v10, 40
	v_add_co_ci_u32_e64 v7, null, 0, v3, vcc_lo
	v_mov_b32_e32 v11, 41
	v_mov_b32_e32 v12, 42
	global_store_dword v[0:1], v8, off offset:1536
	global_store_dword v[0:1], v9, off offset:1792
	global_store_dword v[6:7], v10, off offset:-2048
	global_store_dword v[4:5], v11, off offset:256
	global_store_dword v[4:5], v12, off offset:512
	v_mov_b32_e32 v0, 43
	v_mov_b32_e32 v1, 44
	;; [unrolled: 1-line block ×5, first 2 shown]
	global_store_dword v[4:5], v0, off offset:768
	global_store_dword v[4:5], v1, off offset:1024
	;; [unrolled: 1-line block ×5, first 2 shown]
	v_mov_b32_e32 v4, 48
	v_add_co_u32 v0, vcc_lo, 0x3000, v2
	v_add_co_ci_u32_e64 v1, null, 0, v3, vcc_lo
	global_store_dword v[6:7], v4, off
	v_mov_b32_e32 v4, 49
	v_mov_b32_e32 v5, 50
	;; [unrolled: 1-line block ×5, first 2 shown]
	global_store_dword v[0:1], v4, off offset:256
	global_store_dword v[0:1], v5, off offset:512
	;; [unrolled: 1-line block ×5, first 2 shown]
	v_mov_b32_e32 v4, 54
	v_add_co_u32 v2, vcc_lo, 0x3800, v2
	v_mov_b32_e32 v5, 55
	v_add_co_ci_u32_e64 v3, null, 0, v3, vcc_lo
	v_mov_b32_e32 v6, 56
	v_mov_b32_e32 v7, 57
	;; [unrolled: 1-line block ×3, first 2 shown]
	global_store_dword v[0:1], v4, off offset:1536
	global_store_dword v[0:1], v5, off offset:1792
	global_store_dword v[2:3], v6, off
	global_store_dword v[2:3], v7, off offset:256
	global_store_dword v[2:3], v8, off offset:512
	v_mov_b32_e32 v0, 59
	v_mov_b32_e32 v1, 60
	;; [unrolled: 1-line block ×5, first 2 shown]
	global_store_dword v[2:3], v0, off offset:768
	global_store_dword v[2:3], v1, off offset:1024
	;; [unrolled: 1-line block ×5, first 2 shown]
	s_endpgm
	.section	.rodata,"a",@progbits
	.p2align	6, 0x0
	.amdhsa_kernel _Z17warp_store_kernelILj256ELj64ELj64ELN6hipcub18WarpStoreAlgorithmE1EiEvPT3_
		.amdhsa_group_segment_fixed_size 0
		.amdhsa_private_segment_fixed_size 0
		.amdhsa_kernarg_size 8
		.amdhsa_user_sgpr_count 6
		.amdhsa_user_sgpr_private_segment_buffer 1
		.amdhsa_user_sgpr_dispatch_ptr 0
		.amdhsa_user_sgpr_queue_ptr 0
		.amdhsa_user_sgpr_kernarg_segment_ptr 1
		.amdhsa_user_sgpr_dispatch_id 0
		.amdhsa_user_sgpr_flat_scratch_init 0
		.amdhsa_user_sgpr_private_segment_size 0
		.amdhsa_wavefront_size32 1
		.amdhsa_uses_dynamic_stack 0
		.amdhsa_system_sgpr_private_segment_wavefront_offset 0
		.amdhsa_system_sgpr_workgroup_id_x 1
		.amdhsa_system_sgpr_workgroup_id_y 0
		.amdhsa_system_sgpr_workgroup_id_z 0
		.amdhsa_system_sgpr_workgroup_info 0
		.amdhsa_system_vgpr_workitem_id 0
		.amdhsa_next_free_vgpr 13
		.amdhsa_next_free_sgpr 7
		.amdhsa_reserve_vcc 1
		.amdhsa_reserve_flat_scratch 0
		.amdhsa_float_round_mode_32 0
		.amdhsa_float_round_mode_16_64 0
		.amdhsa_float_denorm_mode_32 3
		.amdhsa_float_denorm_mode_16_64 3
		.amdhsa_dx10_clamp 1
		.amdhsa_ieee_mode 1
		.amdhsa_fp16_overflow 0
		.amdhsa_workgroup_processor_mode 1
		.amdhsa_memory_ordered 1
		.amdhsa_forward_progress 1
		.amdhsa_shared_vgpr_count 0
		.amdhsa_exception_fp_ieee_invalid_op 0
		.amdhsa_exception_fp_denorm_src 0
		.amdhsa_exception_fp_ieee_div_zero 0
		.amdhsa_exception_fp_ieee_overflow 0
		.amdhsa_exception_fp_ieee_underflow 0
		.amdhsa_exception_fp_ieee_inexact 0
		.amdhsa_exception_int_div_zero 0
	.end_amdhsa_kernel
	.section	.text._Z17warp_store_kernelILj256ELj64ELj64ELN6hipcub18WarpStoreAlgorithmE1EiEvPT3_,"axG",@progbits,_Z17warp_store_kernelILj256ELj64ELj64ELN6hipcub18WarpStoreAlgorithmE1EiEvPT3_,comdat
.Lfunc_end54:
	.size	_Z17warp_store_kernelILj256ELj64ELj64ELN6hipcub18WarpStoreAlgorithmE1EiEvPT3_, .Lfunc_end54-_Z17warp_store_kernelILj256ELj64ELj64ELN6hipcub18WarpStoreAlgorithmE1EiEvPT3_
                                        ; -- End function
	.set _Z17warp_store_kernelILj256ELj64ELj64ELN6hipcub18WarpStoreAlgorithmE1EiEvPT3_.num_vgpr, 13
	.set _Z17warp_store_kernelILj256ELj64ELj64ELN6hipcub18WarpStoreAlgorithmE1EiEvPT3_.num_agpr, 0
	.set _Z17warp_store_kernelILj256ELj64ELj64ELN6hipcub18WarpStoreAlgorithmE1EiEvPT3_.numbered_sgpr, 7
	.set _Z17warp_store_kernelILj256ELj64ELj64ELN6hipcub18WarpStoreAlgorithmE1EiEvPT3_.num_named_barrier, 0
	.set _Z17warp_store_kernelILj256ELj64ELj64ELN6hipcub18WarpStoreAlgorithmE1EiEvPT3_.private_seg_size, 0
	.set _Z17warp_store_kernelILj256ELj64ELj64ELN6hipcub18WarpStoreAlgorithmE1EiEvPT3_.uses_vcc, 1
	.set _Z17warp_store_kernelILj256ELj64ELj64ELN6hipcub18WarpStoreAlgorithmE1EiEvPT3_.uses_flat_scratch, 0
	.set _Z17warp_store_kernelILj256ELj64ELj64ELN6hipcub18WarpStoreAlgorithmE1EiEvPT3_.has_dyn_sized_stack, 0
	.set _Z17warp_store_kernelILj256ELj64ELj64ELN6hipcub18WarpStoreAlgorithmE1EiEvPT3_.has_recursion, 0
	.set _Z17warp_store_kernelILj256ELj64ELj64ELN6hipcub18WarpStoreAlgorithmE1EiEvPT3_.has_indirect_call, 0
	.section	.AMDGPU.csdata,"",@progbits
; Kernel info:
; codeLenInByte = 1056
; TotalNumSgprs: 9
; NumVgprs: 13
; ScratchSize: 0
; MemoryBound: 0
; FloatMode: 240
; IeeeMode: 1
; LDSByteSize: 0 bytes/workgroup (compile time only)
; SGPRBlocks: 0
; VGPRBlocks: 1
; NumSGPRsForWavesPerEU: 9
; NumVGPRsForWavesPerEU: 13
; Occupancy: 16
; WaveLimiterHint : 1
; COMPUTE_PGM_RSRC2:SCRATCH_EN: 0
; COMPUTE_PGM_RSRC2:USER_SGPR: 6
; COMPUTE_PGM_RSRC2:TRAP_HANDLER: 0
; COMPUTE_PGM_RSRC2:TGID_X_EN: 1
; COMPUTE_PGM_RSRC2:TGID_Y_EN: 0
; COMPUTE_PGM_RSRC2:TGID_Z_EN: 0
; COMPUTE_PGM_RSRC2:TIDIG_COMP_CNT: 0
	.section	.text._Z17warp_store_kernelILj256ELj64ELj64ELN6hipcub18WarpStoreAlgorithmE2EiEvPT3_,"axG",@progbits,_Z17warp_store_kernelILj256ELj64ELj64ELN6hipcub18WarpStoreAlgorithmE2EiEvPT3_,comdat
	.protected	_Z17warp_store_kernelILj256ELj64ELj64ELN6hipcub18WarpStoreAlgorithmE2EiEvPT3_ ; -- Begin function _Z17warp_store_kernelILj256ELj64ELj64ELN6hipcub18WarpStoreAlgorithmE2EiEvPT3_
	.globl	_Z17warp_store_kernelILj256ELj64ELj64ELN6hipcub18WarpStoreAlgorithmE2EiEvPT3_
	.p2align	8
	.type	_Z17warp_store_kernelILj256ELj64ELj64ELN6hipcub18WarpStoreAlgorithmE2EiEvPT3_,@function
_Z17warp_store_kernelILj256ELj64ELj64ELN6hipcub18WarpStoreAlgorithmE2EiEvPT3_: ; @_Z17warp_store_kernelILj256ELj64ELj64ELN6hipcub18WarpStoreAlgorithmE2EiEvPT3_
; %bb.0:
	s_load_dwordx2 s[0:1], s[4:5], 0x0
	v_lshlrev_b32_e32 v0, 6, v0
	s_lshl_b32 s2, s6, 14
	v_mov_b32_e32 v9, 0
	v_mbcnt_lo_u32_b32 v12, -1, 0
	v_mov_b32_e32 v1, 1
	v_and_or_b32 v8, 0x3000, v0, s2
	v_mov_b32_e32 v2, 2
	v_mov_b32_e32 v3, 3
	v_lshlrev_b32_e32 v12, 8, v12
	v_mov_b32_e32 v0, v9
	v_lshlrev_b64 v[10:11], 2, v[8:9]
	v_mov_b32_e32 v4, 4
	v_mov_b32_e32 v5, 5
	;; [unrolled: 1-line block ×8, first 2 shown]
	s_waitcnt lgkmcnt(0)
	v_add_co_u32 v10, vcc_lo, s0, v10
	v_add_co_ci_u32_e64 v11, null, s1, v11, vcc_lo
	v_mov_b32_e32 v15, 15
	v_add_co_u32 v20, vcc_lo, v10, v12
	v_add_co_ci_u32_e64 v21, null, 0, v11, vcc_lo
	v_mov_b32_e32 v10, 10
	v_mov_b32_e32 v11, 11
	;; [unrolled: 1-line block ×3, first 2 shown]
	global_store_dwordx4 v[20:21], v[0:3], off
	v_mov_b32_e32 v0, 16
	v_mov_b32_e32 v1, 17
	;; [unrolled: 1-line block ×8, first 2 shown]
	global_store_dwordx4 v[20:21], v[4:7], off offset:16
	global_store_dwordx4 v[20:21], v[8:11], off offset:32
	;; [unrolled: 1-line block ×5, first 2 shown]
	v_mov_b32_e32 v0, 24
	v_mov_b32_e32 v1, 25
	v_mov_b32_e32 v2, 26
	v_mov_b32_e32 v3, 27
	v_mov_b32_e32 v4, 28
	v_mov_b32_e32 v5, 29
	v_mov_b32_e32 v6, 30
	v_mov_b32_e32 v7, 31
	v_mov_b32_e32 v8, 32
	v_mov_b32_e32 v9, 33
	v_mov_b32_e32 v10, 34
	v_mov_b32_e32 v11, 35
	v_mov_b32_e32 v12, 36
	v_mov_b32_e32 v13, 37
	v_mov_b32_e32 v14, 38
	v_mov_b32_e32 v15, 39
	v_mov_b32_e32 v16, 40
	v_mov_b32_e32 v17, 41
	v_mov_b32_e32 v18, 42
	v_mov_b32_e32 v19, 43
	global_store_dwordx4 v[20:21], v[0:3], off offset:96
	global_store_dwordx4 v[20:21], v[4:7], off offset:112
	;; [unrolled: 1-line block ×5, first 2 shown]
	v_mov_b32_e32 v0, 44
	v_mov_b32_e32 v1, 45
	;; [unrolled: 1-line block ×20, first 2 shown]
	global_store_dwordx4 v[20:21], v[0:3], off offset:176
	global_store_dwordx4 v[20:21], v[4:7], off offset:192
	;; [unrolled: 1-line block ×5, first 2 shown]
	s_endpgm
	.section	.rodata,"a",@progbits
	.p2align	6, 0x0
	.amdhsa_kernel _Z17warp_store_kernelILj256ELj64ELj64ELN6hipcub18WarpStoreAlgorithmE2EiEvPT3_
		.amdhsa_group_segment_fixed_size 0
		.amdhsa_private_segment_fixed_size 0
		.amdhsa_kernarg_size 8
		.amdhsa_user_sgpr_count 6
		.amdhsa_user_sgpr_private_segment_buffer 1
		.amdhsa_user_sgpr_dispatch_ptr 0
		.amdhsa_user_sgpr_queue_ptr 0
		.amdhsa_user_sgpr_kernarg_segment_ptr 1
		.amdhsa_user_sgpr_dispatch_id 0
		.amdhsa_user_sgpr_flat_scratch_init 0
		.amdhsa_user_sgpr_private_segment_size 0
		.amdhsa_wavefront_size32 1
		.amdhsa_uses_dynamic_stack 0
		.amdhsa_system_sgpr_private_segment_wavefront_offset 0
		.amdhsa_system_sgpr_workgroup_id_x 1
		.amdhsa_system_sgpr_workgroup_id_y 0
		.amdhsa_system_sgpr_workgroup_id_z 0
		.amdhsa_system_sgpr_workgroup_info 0
		.amdhsa_system_vgpr_workitem_id 0
		.amdhsa_next_free_vgpr 22
		.amdhsa_next_free_sgpr 7
		.amdhsa_reserve_vcc 1
		.amdhsa_reserve_flat_scratch 0
		.amdhsa_float_round_mode_32 0
		.amdhsa_float_round_mode_16_64 0
		.amdhsa_float_denorm_mode_32 3
		.amdhsa_float_denorm_mode_16_64 3
		.amdhsa_dx10_clamp 1
		.amdhsa_ieee_mode 1
		.amdhsa_fp16_overflow 0
		.amdhsa_workgroup_processor_mode 1
		.amdhsa_memory_ordered 1
		.amdhsa_forward_progress 1
		.amdhsa_shared_vgpr_count 0
		.amdhsa_exception_fp_ieee_invalid_op 0
		.amdhsa_exception_fp_denorm_src 0
		.amdhsa_exception_fp_ieee_div_zero 0
		.amdhsa_exception_fp_ieee_overflow 0
		.amdhsa_exception_fp_ieee_underflow 0
		.amdhsa_exception_fp_ieee_inexact 0
		.amdhsa_exception_int_div_zero 0
	.end_amdhsa_kernel
	.section	.text._Z17warp_store_kernelILj256ELj64ELj64ELN6hipcub18WarpStoreAlgorithmE2EiEvPT3_,"axG",@progbits,_Z17warp_store_kernelILj256ELj64ELj64ELN6hipcub18WarpStoreAlgorithmE2EiEvPT3_,comdat
.Lfunc_end55:
	.size	_Z17warp_store_kernelILj256ELj64ELj64ELN6hipcub18WarpStoreAlgorithmE2EiEvPT3_, .Lfunc_end55-_Z17warp_store_kernelILj256ELj64ELj64ELN6hipcub18WarpStoreAlgorithmE2EiEvPT3_
                                        ; -- End function
	.set _Z17warp_store_kernelILj256ELj64ELj64ELN6hipcub18WarpStoreAlgorithmE2EiEvPT3_.num_vgpr, 22
	.set _Z17warp_store_kernelILj256ELj64ELj64ELN6hipcub18WarpStoreAlgorithmE2EiEvPT3_.num_agpr, 0
	.set _Z17warp_store_kernelILj256ELj64ELj64ELN6hipcub18WarpStoreAlgorithmE2EiEvPT3_.numbered_sgpr, 7
	.set _Z17warp_store_kernelILj256ELj64ELj64ELN6hipcub18WarpStoreAlgorithmE2EiEvPT3_.num_named_barrier, 0
	.set _Z17warp_store_kernelILj256ELj64ELj64ELN6hipcub18WarpStoreAlgorithmE2EiEvPT3_.private_seg_size, 0
	.set _Z17warp_store_kernelILj256ELj64ELj64ELN6hipcub18WarpStoreAlgorithmE2EiEvPT3_.uses_vcc, 1
	.set _Z17warp_store_kernelILj256ELj64ELj64ELN6hipcub18WarpStoreAlgorithmE2EiEvPT3_.uses_flat_scratch, 0
	.set _Z17warp_store_kernelILj256ELj64ELj64ELN6hipcub18WarpStoreAlgorithmE2EiEvPT3_.has_dyn_sized_stack, 0
	.set _Z17warp_store_kernelILj256ELj64ELj64ELN6hipcub18WarpStoreAlgorithmE2EiEvPT3_.has_recursion, 0
	.set _Z17warp_store_kernelILj256ELj64ELj64ELN6hipcub18WarpStoreAlgorithmE2EiEvPT3_.has_indirect_call, 0
	.section	.AMDGPU.csdata,"",@progbits
; Kernel info:
; codeLenInByte = 476
; TotalNumSgprs: 9
; NumVgprs: 22
; ScratchSize: 0
; MemoryBound: 1
; FloatMode: 240
; IeeeMode: 1
; LDSByteSize: 0 bytes/workgroup (compile time only)
; SGPRBlocks: 0
; VGPRBlocks: 2
; NumSGPRsForWavesPerEU: 9
; NumVGPRsForWavesPerEU: 22
; Occupancy: 16
; WaveLimiterHint : 1
; COMPUTE_PGM_RSRC2:SCRATCH_EN: 0
; COMPUTE_PGM_RSRC2:USER_SGPR: 6
; COMPUTE_PGM_RSRC2:TRAP_HANDLER: 0
; COMPUTE_PGM_RSRC2:TGID_X_EN: 1
; COMPUTE_PGM_RSRC2:TGID_Y_EN: 0
; COMPUTE_PGM_RSRC2:TGID_Z_EN: 0
; COMPUTE_PGM_RSRC2:TIDIG_COMP_CNT: 0
	.section	.text._Z17warp_store_kernelILj256ELj4ELj64ELN6hipcub18WarpStoreAlgorithmE0EdEvPT3_,"axG",@progbits,_Z17warp_store_kernelILj256ELj4ELj64ELN6hipcub18WarpStoreAlgorithmE0EdEvPT3_,comdat
	.protected	_Z17warp_store_kernelILj256ELj4ELj64ELN6hipcub18WarpStoreAlgorithmE0EdEvPT3_ ; -- Begin function _Z17warp_store_kernelILj256ELj4ELj64ELN6hipcub18WarpStoreAlgorithmE0EdEvPT3_
	.globl	_Z17warp_store_kernelILj256ELj4ELj64ELN6hipcub18WarpStoreAlgorithmE0EdEvPT3_
	.p2align	8
	.type	_Z17warp_store_kernelILj256ELj4ELj64ELN6hipcub18WarpStoreAlgorithmE0EdEvPT3_,@function
_Z17warp_store_kernelILj256ELj4ELj64ELN6hipcub18WarpStoreAlgorithmE0EdEvPT3_: ; @_Z17warp_store_kernelILj256ELj4ELj64ELN6hipcub18WarpStoreAlgorithmE0EdEvPT3_
; %bb.0:
	s_load_dwordx2 s[0:1], s[4:5], 0x0
	v_lshlrev_b32_e32 v0, 2, v0
	s_lshl_b32 s2, s6, 10
	v_mov_b32_e32 v1, 0
	v_mbcnt_lo_u32_b32 v2, -1, 0
	v_mov_b32_e32 v3, 0x3ff00000
	v_and_or_b32 v0, 0x300, v0, s2
	v_mov_b32_e32 v5, 2.0
	v_mov_b32_e32 v7, 0x40080000
	v_lshlrev_b32_e32 v6, 5, v2
	v_mov_b32_e32 v2, v1
	v_lshlrev_b64 v[8:9], 3, v[0:1]
	v_mov_b32_e32 v0, v1
	v_mov_b32_e32 v4, v1
	s_waitcnt lgkmcnt(0)
	v_add_co_u32 v8, vcc_lo, s0, v8
	v_add_co_ci_u32_e64 v9, null, s1, v9, vcc_lo
	v_add_co_u32 v8, vcc_lo, v8, v6
	v_add_co_ci_u32_e64 v9, null, 0, v9, vcc_lo
	v_mov_b32_e32 v6, v1
	global_store_dwordx4 v[8:9], v[0:3], off
	global_store_dwordx4 v[8:9], v[4:7], off offset:16
	s_endpgm
	.section	.rodata,"a",@progbits
	.p2align	6, 0x0
	.amdhsa_kernel _Z17warp_store_kernelILj256ELj4ELj64ELN6hipcub18WarpStoreAlgorithmE0EdEvPT3_
		.amdhsa_group_segment_fixed_size 0
		.amdhsa_private_segment_fixed_size 0
		.amdhsa_kernarg_size 8
		.amdhsa_user_sgpr_count 6
		.amdhsa_user_sgpr_private_segment_buffer 1
		.amdhsa_user_sgpr_dispatch_ptr 0
		.amdhsa_user_sgpr_queue_ptr 0
		.amdhsa_user_sgpr_kernarg_segment_ptr 1
		.amdhsa_user_sgpr_dispatch_id 0
		.amdhsa_user_sgpr_flat_scratch_init 0
		.amdhsa_user_sgpr_private_segment_size 0
		.amdhsa_wavefront_size32 1
		.amdhsa_uses_dynamic_stack 0
		.amdhsa_system_sgpr_private_segment_wavefront_offset 0
		.amdhsa_system_sgpr_workgroup_id_x 1
		.amdhsa_system_sgpr_workgroup_id_y 0
		.amdhsa_system_sgpr_workgroup_id_z 0
		.amdhsa_system_sgpr_workgroup_info 0
		.amdhsa_system_vgpr_workitem_id 0
		.amdhsa_next_free_vgpr 10
		.amdhsa_next_free_sgpr 7
		.amdhsa_reserve_vcc 1
		.amdhsa_reserve_flat_scratch 0
		.amdhsa_float_round_mode_32 0
		.amdhsa_float_round_mode_16_64 0
		.amdhsa_float_denorm_mode_32 3
		.amdhsa_float_denorm_mode_16_64 3
		.amdhsa_dx10_clamp 1
		.amdhsa_ieee_mode 1
		.amdhsa_fp16_overflow 0
		.amdhsa_workgroup_processor_mode 1
		.amdhsa_memory_ordered 1
		.amdhsa_forward_progress 1
		.amdhsa_shared_vgpr_count 0
		.amdhsa_exception_fp_ieee_invalid_op 0
		.amdhsa_exception_fp_denorm_src 0
		.amdhsa_exception_fp_ieee_div_zero 0
		.amdhsa_exception_fp_ieee_overflow 0
		.amdhsa_exception_fp_ieee_underflow 0
		.amdhsa_exception_fp_ieee_inexact 0
		.amdhsa_exception_int_div_zero 0
	.end_amdhsa_kernel
	.section	.text._Z17warp_store_kernelILj256ELj4ELj64ELN6hipcub18WarpStoreAlgorithmE0EdEvPT3_,"axG",@progbits,_Z17warp_store_kernelILj256ELj4ELj64ELN6hipcub18WarpStoreAlgorithmE0EdEvPT3_,comdat
.Lfunc_end56:
	.size	_Z17warp_store_kernelILj256ELj4ELj64ELN6hipcub18WarpStoreAlgorithmE0EdEvPT3_, .Lfunc_end56-_Z17warp_store_kernelILj256ELj4ELj64ELN6hipcub18WarpStoreAlgorithmE0EdEvPT3_
                                        ; -- End function
	.set _Z17warp_store_kernelILj256ELj4ELj64ELN6hipcub18WarpStoreAlgorithmE0EdEvPT3_.num_vgpr, 10
	.set _Z17warp_store_kernelILj256ELj4ELj64ELN6hipcub18WarpStoreAlgorithmE0EdEvPT3_.num_agpr, 0
	.set _Z17warp_store_kernelILj256ELj4ELj64ELN6hipcub18WarpStoreAlgorithmE0EdEvPT3_.numbered_sgpr, 7
	.set _Z17warp_store_kernelILj256ELj4ELj64ELN6hipcub18WarpStoreAlgorithmE0EdEvPT3_.num_named_barrier, 0
	.set _Z17warp_store_kernelILj256ELj4ELj64ELN6hipcub18WarpStoreAlgorithmE0EdEvPT3_.private_seg_size, 0
	.set _Z17warp_store_kernelILj256ELj4ELj64ELN6hipcub18WarpStoreAlgorithmE0EdEvPT3_.uses_vcc, 1
	.set _Z17warp_store_kernelILj256ELj4ELj64ELN6hipcub18WarpStoreAlgorithmE0EdEvPT3_.uses_flat_scratch, 0
	.set _Z17warp_store_kernelILj256ELj4ELj64ELN6hipcub18WarpStoreAlgorithmE0EdEvPT3_.has_dyn_sized_stack, 0
	.set _Z17warp_store_kernelILj256ELj4ELj64ELN6hipcub18WarpStoreAlgorithmE0EdEvPT3_.has_recursion, 0
	.set _Z17warp_store_kernelILj256ELj4ELj64ELN6hipcub18WarpStoreAlgorithmE0EdEvPT3_.has_indirect_call, 0
	.section	.AMDGPU.csdata,"",@progbits
; Kernel info:
; codeLenInByte = 144
; TotalNumSgprs: 9
; NumVgprs: 10
; ScratchSize: 0
; MemoryBound: 0
; FloatMode: 240
; IeeeMode: 1
; LDSByteSize: 0 bytes/workgroup (compile time only)
; SGPRBlocks: 0
; VGPRBlocks: 1
; NumSGPRsForWavesPerEU: 9
; NumVGPRsForWavesPerEU: 10
; Occupancy: 16
; WaveLimiterHint : 0
; COMPUTE_PGM_RSRC2:SCRATCH_EN: 0
; COMPUTE_PGM_RSRC2:USER_SGPR: 6
; COMPUTE_PGM_RSRC2:TRAP_HANDLER: 0
; COMPUTE_PGM_RSRC2:TGID_X_EN: 1
; COMPUTE_PGM_RSRC2:TGID_Y_EN: 0
; COMPUTE_PGM_RSRC2:TGID_Z_EN: 0
; COMPUTE_PGM_RSRC2:TIDIG_COMP_CNT: 0
	.section	.text._Z17warp_store_kernelILj256ELj4ELj64ELN6hipcub18WarpStoreAlgorithmE1EdEvPT3_,"axG",@progbits,_Z17warp_store_kernelILj256ELj4ELj64ELN6hipcub18WarpStoreAlgorithmE1EdEvPT3_,comdat
	.protected	_Z17warp_store_kernelILj256ELj4ELj64ELN6hipcub18WarpStoreAlgorithmE1EdEvPT3_ ; -- Begin function _Z17warp_store_kernelILj256ELj4ELj64ELN6hipcub18WarpStoreAlgorithmE1EdEvPT3_
	.globl	_Z17warp_store_kernelILj256ELj4ELj64ELN6hipcub18WarpStoreAlgorithmE1EdEvPT3_
	.p2align	8
	.type	_Z17warp_store_kernelILj256ELj4ELj64ELN6hipcub18WarpStoreAlgorithmE1EdEvPT3_,@function
_Z17warp_store_kernelILj256ELj4ELj64ELN6hipcub18WarpStoreAlgorithmE1EdEvPT3_: ; @_Z17warp_store_kernelILj256ELj4ELj64ELN6hipcub18WarpStoreAlgorithmE1EdEvPT3_
; %bb.0:
	s_load_dwordx2 s[0:1], s[4:5], 0x0
	v_lshlrev_b32_e32 v0, 2, v0
	s_lshl_b32 s2, s6, 10
	v_mov_b32_e32 v1, 0
	v_mbcnt_lo_u32_b32 v5, -1, 0
	v_mov_b32_e32 v4, 0x3ff00000
	v_and_or_b32 v0, 0x300, v0, s2
	v_mov_b32_e32 v6, 2.0
	v_mov_b32_e32 v8, 0x40080000
	v_lshlrev_b32_e32 v5, 3, v5
	v_mov_b32_e32 v7, v1
	v_lshlrev_b64 v[2:3], 3, v[0:1]
	v_mov_b32_e32 v0, v1
	s_waitcnt lgkmcnt(0)
	v_add_co_u32 v2, vcc_lo, s0, v2
	v_add_co_ci_u32_e64 v3, null, s1, v3, vcc_lo
	v_add_co_u32 v9, vcc_lo, v2, v5
	v_add_co_ci_u32_e64 v10, null, 0, v3, vcc_lo
	v_mov_b32_e32 v3, v1
	v_mov_b32_e32 v5, v1
	global_store_dwordx2 v[9:10], v[0:1], off
	global_store_dwordx2 v[9:10], v[3:4], off offset:512
	global_store_dwordx2 v[9:10], v[5:6], off offset:1024
	;; [unrolled: 1-line block ×3, first 2 shown]
	s_endpgm
	.section	.rodata,"a",@progbits
	.p2align	6, 0x0
	.amdhsa_kernel _Z17warp_store_kernelILj256ELj4ELj64ELN6hipcub18WarpStoreAlgorithmE1EdEvPT3_
		.amdhsa_group_segment_fixed_size 0
		.amdhsa_private_segment_fixed_size 0
		.amdhsa_kernarg_size 8
		.amdhsa_user_sgpr_count 6
		.amdhsa_user_sgpr_private_segment_buffer 1
		.amdhsa_user_sgpr_dispatch_ptr 0
		.amdhsa_user_sgpr_queue_ptr 0
		.amdhsa_user_sgpr_kernarg_segment_ptr 1
		.amdhsa_user_sgpr_dispatch_id 0
		.amdhsa_user_sgpr_flat_scratch_init 0
		.amdhsa_user_sgpr_private_segment_size 0
		.amdhsa_wavefront_size32 1
		.amdhsa_uses_dynamic_stack 0
		.amdhsa_system_sgpr_private_segment_wavefront_offset 0
		.amdhsa_system_sgpr_workgroup_id_x 1
		.amdhsa_system_sgpr_workgroup_id_y 0
		.amdhsa_system_sgpr_workgroup_id_z 0
		.amdhsa_system_sgpr_workgroup_info 0
		.amdhsa_system_vgpr_workitem_id 0
		.amdhsa_next_free_vgpr 11
		.amdhsa_next_free_sgpr 7
		.amdhsa_reserve_vcc 1
		.amdhsa_reserve_flat_scratch 0
		.amdhsa_float_round_mode_32 0
		.amdhsa_float_round_mode_16_64 0
		.amdhsa_float_denorm_mode_32 3
		.amdhsa_float_denorm_mode_16_64 3
		.amdhsa_dx10_clamp 1
		.amdhsa_ieee_mode 1
		.amdhsa_fp16_overflow 0
		.amdhsa_workgroup_processor_mode 1
		.amdhsa_memory_ordered 1
		.amdhsa_forward_progress 1
		.amdhsa_shared_vgpr_count 0
		.amdhsa_exception_fp_ieee_invalid_op 0
		.amdhsa_exception_fp_denorm_src 0
		.amdhsa_exception_fp_ieee_div_zero 0
		.amdhsa_exception_fp_ieee_overflow 0
		.amdhsa_exception_fp_ieee_underflow 0
		.amdhsa_exception_fp_ieee_inexact 0
		.amdhsa_exception_int_div_zero 0
	.end_amdhsa_kernel
	.section	.text._Z17warp_store_kernelILj256ELj4ELj64ELN6hipcub18WarpStoreAlgorithmE1EdEvPT3_,"axG",@progbits,_Z17warp_store_kernelILj256ELj4ELj64ELN6hipcub18WarpStoreAlgorithmE1EdEvPT3_,comdat
.Lfunc_end57:
	.size	_Z17warp_store_kernelILj256ELj4ELj64ELN6hipcub18WarpStoreAlgorithmE1EdEvPT3_, .Lfunc_end57-_Z17warp_store_kernelILj256ELj4ELj64ELN6hipcub18WarpStoreAlgorithmE1EdEvPT3_
                                        ; -- End function
	.set _Z17warp_store_kernelILj256ELj4ELj64ELN6hipcub18WarpStoreAlgorithmE1EdEvPT3_.num_vgpr, 11
	.set _Z17warp_store_kernelILj256ELj4ELj64ELN6hipcub18WarpStoreAlgorithmE1EdEvPT3_.num_agpr, 0
	.set _Z17warp_store_kernelILj256ELj4ELj64ELN6hipcub18WarpStoreAlgorithmE1EdEvPT3_.numbered_sgpr, 7
	.set _Z17warp_store_kernelILj256ELj4ELj64ELN6hipcub18WarpStoreAlgorithmE1EdEvPT3_.num_named_barrier, 0
	.set _Z17warp_store_kernelILj256ELj4ELj64ELN6hipcub18WarpStoreAlgorithmE1EdEvPT3_.private_seg_size, 0
	.set _Z17warp_store_kernelILj256ELj4ELj64ELN6hipcub18WarpStoreAlgorithmE1EdEvPT3_.uses_vcc, 1
	.set _Z17warp_store_kernelILj256ELj4ELj64ELN6hipcub18WarpStoreAlgorithmE1EdEvPT3_.uses_flat_scratch, 0
	.set _Z17warp_store_kernelILj256ELj4ELj64ELN6hipcub18WarpStoreAlgorithmE1EdEvPT3_.has_dyn_sized_stack, 0
	.set _Z17warp_store_kernelILj256ELj4ELj64ELN6hipcub18WarpStoreAlgorithmE1EdEvPT3_.has_recursion, 0
	.set _Z17warp_store_kernelILj256ELj4ELj64ELN6hipcub18WarpStoreAlgorithmE1EdEvPT3_.has_indirect_call, 0
	.section	.AMDGPU.csdata,"",@progbits
; Kernel info:
; codeLenInByte = 160
; TotalNumSgprs: 9
; NumVgprs: 11
; ScratchSize: 0
; MemoryBound: 0
; FloatMode: 240
; IeeeMode: 1
; LDSByteSize: 0 bytes/workgroup (compile time only)
; SGPRBlocks: 0
; VGPRBlocks: 1
; NumSGPRsForWavesPerEU: 9
; NumVGPRsForWavesPerEU: 11
; Occupancy: 16
; WaveLimiterHint : 1
; COMPUTE_PGM_RSRC2:SCRATCH_EN: 0
; COMPUTE_PGM_RSRC2:USER_SGPR: 6
; COMPUTE_PGM_RSRC2:TRAP_HANDLER: 0
; COMPUTE_PGM_RSRC2:TGID_X_EN: 1
; COMPUTE_PGM_RSRC2:TGID_Y_EN: 0
; COMPUTE_PGM_RSRC2:TGID_Z_EN: 0
; COMPUTE_PGM_RSRC2:TIDIG_COMP_CNT: 0
	.section	.text._Z17warp_store_kernelILj256ELj4ELj64ELN6hipcub18WarpStoreAlgorithmE2EdEvPT3_,"axG",@progbits,_Z17warp_store_kernelILj256ELj4ELj64ELN6hipcub18WarpStoreAlgorithmE2EdEvPT3_,comdat
	.protected	_Z17warp_store_kernelILj256ELj4ELj64ELN6hipcub18WarpStoreAlgorithmE2EdEvPT3_ ; -- Begin function _Z17warp_store_kernelILj256ELj4ELj64ELN6hipcub18WarpStoreAlgorithmE2EdEvPT3_
	.globl	_Z17warp_store_kernelILj256ELj4ELj64ELN6hipcub18WarpStoreAlgorithmE2EdEvPT3_
	.p2align	8
	.type	_Z17warp_store_kernelILj256ELj4ELj64ELN6hipcub18WarpStoreAlgorithmE2EdEvPT3_,@function
_Z17warp_store_kernelILj256ELj4ELj64ELN6hipcub18WarpStoreAlgorithmE2EdEvPT3_: ; @_Z17warp_store_kernelILj256ELj4ELj64ELN6hipcub18WarpStoreAlgorithmE2EdEvPT3_
; %bb.0:
	s_load_dwordx2 s[0:1], s[4:5], 0x0
	v_lshlrev_b32_e32 v0, 2, v0
	s_lshl_b32 s2, s6, 10
	v_mov_b32_e32 v1, 0
	v_mbcnt_lo_u32_b32 v2, -1, 0
	v_mov_b32_e32 v3, 0x3ff00000
	v_and_or_b32 v0, 0x300, v0, s2
	v_mov_b32_e32 v5, 2.0
	v_mov_b32_e32 v7, 0x40080000
	v_lshlrev_b32_e32 v6, 5, v2
	v_mov_b32_e32 v2, v1
	v_lshlrev_b64 v[8:9], 3, v[0:1]
	v_mov_b32_e32 v0, v1
	v_mov_b32_e32 v4, v1
	s_waitcnt lgkmcnt(0)
	v_add_co_u32 v8, vcc_lo, s0, v8
	v_add_co_ci_u32_e64 v9, null, s1, v9, vcc_lo
	v_add_co_u32 v8, vcc_lo, v8, v6
	v_add_co_ci_u32_e64 v9, null, 0, v9, vcc_lo
	v_mov_b32_e32 v6, v1
	global_store_dwordx4 v[8:9], v[0:3], off
	global_store_dwordx4 v[8:9], v[4:7], off offset:16
	s_endpgm
	.section	.rodata,"a",@progbits
	.p2align	6, 0x0
	.amdhsa_kernel _Z17warp_store_kernelILj256ELj4ELj64ELN6hipcub18WarpStoreAlgorithmE2EdEvPT3_
		.amdhsa_group_segment_fixed_size 0
		.amdhsa_private_segment_fixed_size 0
		.amdhsa_kernarg_size 8
		.amdhsa_user_sgpr_count 6
		.amdhsa_user_sgpr_private_segment_buffer 1
		.amdhsa_user_sgpr_dispatch_ptr 0
		.amdhsa_user_sgpr_queue_ptr 0
		.amdhsa_user_sgpr_kernarg_segment_ptr 1
		.amdhsa_user_sgpr_dispatch_id 0
		.amdhsa_user_sgpr_flat_scratch_init 0
		.amdhsa_user_sgpr_private_segment_size 0
		.amdhsa_wavefront_size32 1
		.amdhsa_uses_dynamic_stack 0
		.amdhsa_system_sgpr_private_segment_wavefront_offset 0
		.amdhsa_system_sgpr_workgroup_id_x 1
		.amdhsa_system_sgpr_workgroup_id_y 0
		.amdhsa_system_sgpr_workgroup_id_z 0
		.amdhsa_system_sgpr_workgroup_info 0
		.amdhsa_system_vgpr_workitem_id 0
		.amdhsa_next_free_vgpr 10
		.amdhsa_next_free_sgpr 7
		.amdhsa_reserve_vcc 1
		.amdhsa_reserve_flat_scratch 0
		.amdhsa_float_round_mode_32 0
		.amdhsa_float_round_mode_16_64 0
		.amdhsa_float_denorm_mode_32 3
		.amdhsa_float_denorm_mode_16_64 3
		.amdhsa_dx10_clamp 1
		.amdhsa_ieee_mode 1
		.amdhsa_fp16_overflow 0
		.amdhsa_workgroup_processor_mode 1
		.amdhsa_memory_ordered 1
		.amdhsa_forward_progress 1
		.amdhsa_shared_vgpr_count 0
		.amdhsa_exception_fp_ieee_invalid_op 0
		.amdhsa_exception_fp_denorm_src 0
		.amdhsa_exception_fp_ieee_div_zero 0
		.amdhsa_exception_fp_ieee_overflow 0
		.amdhsa_exception_fp_ieee_underflow 0
		.amdhsa_exception_fp_ieee_inexact 0
		.amdhsa_exception_int_div_zero 0
	.end_amdhsa_kernel
	.section	.text._Z17warp_store_kernelILj256ELj4ELj64ELN6hipcub18WarpStoreAlgorithmE2EdEvPT3_,"axG",@progbits,_Z17warp_store_kernelILj256ELj4ELj64ELN6hipcub18WarpStoreAlgorithmE2EdEvPT3_,comdat
.Lfunc_end58:
	.size	_Z17warp_store_kernelILj256ELj4ELj64ELN6hipcub18WarpStoreAlgorithmE2EdEvPT3_, .Lfunc_end58-_Z17warp_store_kernelILj256ELj4ELj64ELN6hipcub18WarpStoreAlgorithmE2EdEvPT3_
                                        ; -- End function
	.set _Z17warp_store_kernelILj256ELj4ELj64ELN6hipcub18WarpStoreAlgorithmE2EdEvPT3_.num_vgpr, 10
	.set _Z17warp_store_kernelILj256ELj4ELj64ELN6hipcub18WarpStoreAlgorithmE2EdEvPT3_.num_agpr, 0
	.set _Z17warp_store_kernelILj256ELj4ELj64ELN6hipcub18WarpStoreAlgorithmE2EdEvPT3_.numbered_sgpr, 7
	.set _Z17warp_store_kernelILj256ELj4ELj64ELN6hipcub18WarpStoreAlgorithmE2EdEvPT3_.num_named_barrier, 0
	.set _Z17warp_store_kernelILj256ELj4ELj64ELN6hipcub18WarpStoreAlgorithmE2EdEvPT3_.private_seg_size, 0
	.set _Z17warp_store_kernelILj256ELj4ELj64ELN6hipcub18WarpStoreAlgorithmE2EdEvPT3_.uses_vcc, 1
	.set _Z17warp_store_kernelILj256ELj4ELj64ELN6hipcub18WarpStoreAlgorithmE2EdEvPT3_.uses_flat_scratch, 0
	.set _Z17warp_store_kernelILj256ELj4ELj64ELN6hipcub18WarpStoreAlgorithmE2EdEvPT3_.has_dyn_sized_stack, 0
	.set _Z17warp_store_kernelILj256ELj4ELj64ELN6hipcub18WarpStoreAlgorithmE2EdEvPT3_.has_recursion, 0
	.set _Z17warp_store_kernelILj256ELj4ELj64ELN6hipcub18WarpStoreAlgorithmE2EdEvPT3_.has_indirect_call, 0
	.section	.AMDGPU.csdata,"",@progbits
; Kernel info:
; codeLenInByte = 144
; TotalNumSgprs: 9
; NumVgprs: 10
; ScratchSize: 0
; MemoryBound: 0
; FloatMode: 240
; IeeeMode: 1
; LDSByteSize: 0 bytes/workgroup (compile time only)
; SGPRBlocks: 0
; VGPRBlocks: 1
; NumSGPRsForWavesPerEU: 9
; NumVGPRsForWavesPerEU: 10
; Occupancy: 16
; WaveLimiterHint : 0
; COMPUTE_PGM_RSRC2:SCRATCH_EN: 0
; COMPUTE_PGM_RSRC2:USER_SGPR: 6
; COMPUTE_PGM_RSRC2:TRAP_HANDLER: 0
; COMPUTE_PGM_RSRC2:TGID_X_EN: 1
; COMPUTE_PGM_RSRC2:TGID_Y_EN: 0
; COMPUTE_PGM_RSRC2:TGID_Z_EN: 0
; COMPUTE_PGM_RSRC2:TIDIG_COMP_CNT: 0
	.section	.text._Z17warp_store_kernelILj256ELj4ELj64ELN6hipcub18WarpStoreAlgorithmE3EdEvPT3_,"axG",@progbits,_Z17warp_store_kernelILj256ELj4ELj64ELN6hipcub18WarpStoreAlgorithmE3EdEvPT3_,comdat
	.protected	_Z17warp_store_kernelILj256ELj4ELj64ELN6hipcub18WarpStoreAlgorithmE3EdEvPT3_ ; -- Begin function _Z17warp_store_kernelILj256ELj4ELj64ELN6hipcub18WarpStoreAlgorithmE3EdEvPT3_
	.globl	_Z17warp_store_kernelILj256ELj4ELj64ELN6hipcub18WarpStoreAlgorithmE3EdEvPT3_
	.p2align	8
	.type	_Z17warp_store_kernelILj256ELj4ELj64ELN6hipcub18WarpStoreAlgorithmE3EdEvPT3_,@function
_Z17warp_store_kernelILj256ELj4ELj64ELN6hipcub18WarpStoreAlgorithmE3EdEvPT3_: ; @_Z17warp_store_kernelILj256ELj4ELj64ELN6hipcub18WarpStoreAlgorithmE3EdEvPT3_
; %bb.0:
	v_lshrrev_b32_e32 v2, 6, v0
	v_mbcnt_lo_u32_b32 v4, -1, 0
	s_lshl_b32 s0, s6, 10
	v_mov_b32_e32 v1, 0
	v_mov_b32_e32 v3, 0x3ff00000
	v_lshl_or_b32 v0, v2, 8, s0
	s_load_dwordx2 s[0:1], s[4:5], 0x0
	v_lshlrev_b32_e32 v10, 11, v2
	v_lshlrev_b32_e32 v12, 3, v4
	v_mov_b32_e32 v2, v1
	v_lshlrev_b64 v[8:9], 3, v[0:1]
	v_mov_b32_e32 v0, v1
	v_lshl_or_b32 v11, v4, 5, v10
	v_or_b32_e32 v10, v10, v12
	v_mov_b32_e32 v5, 2.0
	v_mov_b32_e32 v7, 0x40080000
	v_mov_b32_e32 v4, v1
	;; [unrolled: 1-line block ×3, first 2 shown]
	ds_write_b128 v11, v[0:3]
	ds_write_b128 v11, v[4:7] offset:16
	; wave barrier
	ds_read2st64_b64 v[0:3], v10 offset1:1
	ds_read2st64_b64 v[4:7], v10 offset0:2 offset1:3
	s_waitcnt lgkmcnt(0)
	v_add_co_u32 v8, vcc_lo, s0, v8
	v_add_co_ci_u32_e64 v9, null, s1, v9, vcc_lo
	v_add_co_u32 v8, vcc_lo, v8, v12
	v_add_co_ci_u32_e64 v9, null, 0, v9, vcc_lo
	global_store_dwordx2 v[8:9], v[0:1], off
	global_store_dwordx2 v[8:9], v[2:3], off offset:512
	global_store_dwordx2 v[8:9], v[4:5], off offset:1024
	;; [unrolled: 1-line block ×3, first 2 shown]
	s_endpgm
	.section	.rodata,"a",@progbits
	.p2align	6, 0x0
	.amdhsa_kernel _Z17warp_store_kernelILj256ELj4ELj64ELN6hipcub18WarpStoreAlgorithmE3EdEvPT3_
		.amdhsa_group_segment_fixed_size 8192
		.amdhsa_private_segment_fixed_size 0
		.amdhsa_kernarg_size 8
		.amdhsa_user_sgpr_count 6
		.amdhsa_user_sgpr_private_segment_buffer 1
		.amdhsa_user_sgpr_dispatch_ptr 0
		.amdhsa_user_sgpr_queue_ptr 0
		.amdhsa_user_sgpr_kernarg_segment_ptr 1
		.amdhsa_user_sgpr_dispatch_id 0
		.amdhsa_user_sgpr_flat_scratch_init 0
		.amdhsa_user_sgpr_private_segment_size 0
		.amdhsa_wavefront_size32 1
		.amdhsa_uses_dynamic_stack 0
		.amdhsa_system_sgpr_private_segment_wavefront_offset 0
		.amdhsa_system_sgpr_workgroup_id_x 1
		.amdhsa_system_sgpr_workgroup_id_y 0
		.amdhsa_system_sgpr_workgroup_id_z 0
		.amdhsa_system_sgpr_workgroup_info 0
		.amdhsa_system_vgpr_workitem_id 0
		.amdhsa_next_free_vgpr 13
		.amdhsa_next_free_sgpr 7
		.amdhsa_reserve_vcc 1
		.amdhsa_reserve_flat_scratch 0
		.amdhsa_float_round_mode_32 0
		.amdhsa_float_round_mode_16_64 0
		.amdhsa_float_denorm_mode_32 3
		.amdhsa_float_denorm_mode_16_64 3
		.amdhsa_dx10_clamp 1
		.amdhsa_ieee_mode 1
		.amdhsa_fp16_overflow 0
		.amdhsa_workgroup_processor_mode 1
		.amdhsa_memory_ordered 1
		.amdhsa_forward_progress 1
		.amdhsa_shared_vgpr_count 0
		.amdhsa_exception_fp_ieee_invalid_op 0
		.amdhsa_exception_fp_denorm_src 0
		.amdhsa_exception_fp_ieee_div_zero 0
		.amdhsa_exception_fp_ieee_overflow 0
		.amdhsa_exception_fp_ieee_underflow 0
		.amdhsa_exception_fp_ieee_inexact 0
		.amdhsa_exception_int_div_zero 0
	.end_amdhsa_kernel
	.section	.text._Z17warp_store_kernelILj256ELj4ELj64ELN6hipcub18WarpStoreAlgorithmE3EdEvPT3_,"axG",@progbits,_Z17warp_store_kernelILj256ELj4ELj64ELN6hipcub18WarpStoreAlgorithmE3EdEvPT3_,comdat
.Lfunc_end59:
	.size	_Z17warp_store_kernelILj256ELj4ELj64ELN6hipcub18WarpStoreAlgorithmE3EdEvPT3_, .Lfunc_end59-_Z17warp_store_kernelILj256ELj4ELj64ELN6hipcub18WarpStoreAlgorithmE3EdEvPT3_
                                        ; -- End function
	.set _Z17warp_store_kernelILj256ELj4ELj64ELN6hipcub18WarpStoreAlgorithmE3EdEvPT3_.num_vgpr, 13
	.set _Z17warp_store_kernelILj256ELj4ELj64ELN6hipcub18WarpStoreAlgorithmE3EdEvPT3_.num_agpr, 0
	.set _Z17warp_store_kernelILj256ELj4ELj64ELN6hipcub18WarpStoreAlgorithmE3EdEvPT3_.numbered_sgpr, 7
	.set _Z17warp_store_kernelILj256ELj4ELj64ELN6hipcub18WarpStoreAlgorithmE3EdEvPT3_.num_named_barrier, 0
	.set _Z17warp_store_kernelILj256ELj4ELj64ELN6hipcub18WarpStoreAlgorithmE3EdEvPT3_.private_seg_size, 0
	.set _Z17warp_store_kernelILj256ELj4ELj64ELN6hipcub18WarpStoreAlgorithmE3EdEvPT3_.uses_vcc, 1
	.set _Z17warp_store_kernelILj256ELj4ELj64ELN6hipcub18WarpStoreAlgorithmE3EdEvPT3_.uses_flat_scratch, 0
	.set _Z17warp_store_kernelILj256ELj4ELj64ELN6hipcub18WarpStoreAlgorithmE3EdEvPT3_.has_dyn_sized_stack, 0
	.set _Z17warp_store_kernelILj256ELj4ELj64ELN6hipcub18WarpStoreAlgorithmE3EdEvPT3_.has_recursion, 0
	.set _Z17warp_store_kernelILj256ELj4ELj64ELN6hipcub18WarpStoreAlgorithmE3EdEvPT3_.has_indirect_call, 0
	.section	.AMDGPU.csdata,"",@progbits
; Kernel info:
; codeLenInByte = 204
; TotalNumSgprs: 9
; NumVgprs: 13
; ScratchSize: 0
; MemoryBound: 1
; FloatMode: 240
; IeeeMode: 1
; LDSByteSize: 8192 bytes/workgroup (compile time only)
; SGPRBlocks: 0
; VGPRBlocks: 1
; NumSGPRsForWavesPerEU: 9
; NumVGPRsForWavesPerEU: 13
; Occupancy: 16
; WaveLimiterHint : 1
; COMPUTE_PGM_RSRC2:SCRATCH_EN: 0
; COMPUTE_PGM_RSRC2:USER_SGPR: 6
; COMPUTE_PGM_RSRC2:TRAP_HANDLER: 0
; COMPUTE_PGM_RSRC2:TGID_X_EN: 1
; COMPUTE_PGM_RSRC2:TGID_Y_EN: 0
; COMPUTE_PGM_RSRC2:TGID_Z_EN: 0
; COMPUTE_PGM_RSRC2:TIDIG_COMP_CNT: 0
	.section	.text._Z17warp_store_kernelILj256ELj8ELj64ELN6hipcub18WarpStoreAlgorithmE0EdEvPT3_,"axG",@progbits,_Z17warp_store_kernelILj256ELj8ELj64ELN6hipcub18WarpStoreAlgorithmE0EdEvPT3_,comdat
	.protected	_Z17warp_store_kernelILj256ELj8ELj64ELN6hipcub18WarpStoreAlgorithmE0EdEvPT3_ ; -- Begin function _Z17warp_store_kernelILj256ELj8ELj64ELN6hipcub18WarpStoreAlgorithmE0EdEvPT3_
	.globl	_Z17warp_store_kernelILj256ELj8ELj64ELN6hipcub18WarpStoreAlgorithmE0EdEvPT3_
	.p2align	8
	.type	_Z17warp_store_kernelILj256ELj8ELj64ELN6hipcub18WarpStoreAlgorithmE0EdEvPT3_,@function
_Z17warp_store_kernelILj256ELj8ELj64ELN6hipcub18WarpStoreAlgorithmE0EdEvPT3_: ; @_Z17warp_store_kernelILj256ELj8ELj64ELN6hipcub18WarpStoreAlgorithmE0EdEvPT3_
; %bb.0:
	s_load_dwordx2 s[0:1], s[4:5], 0x0
	v_lshlrev_b32_e32 v0, 3, v0
	s_lshl_b32 s2, s6, 11
	v_mov_b32_e32 v1, 0
	v_mbcnt_lo_u32_b32 v2, -1, 0
	v_mov_b32_e32 v3, 0x3ff00000
	v_and_or_b32 v0, 0x600, v0, s2
	v_mov_b32_e32 v5, 2.0
	v_mov_b32_e32 v7, 0x40080000
	v_lshlrev_b32_e32 v8, 6, v2
	v_mov_b32_e32 v2, v1
	v_lshlrev_b64 v[12:13], 3, v[0:1]
	v_mov_b32_e32 v0, v1
	v_mov_b32_e32 v4, v1
	;; [unrolled: 1-line block ×7, first 2 shown]
	s_waitcnt lgkmcnt(0)
	v_add_co_u32 v10, vcc_lo, s0, v12
	v_add_co_ci_u32_e64 v12, null, s1, v13, vcc_lo
	v_mov_b32_e32 v13, 0x40180000
	v_add_co_u32 v16, vcc_lo, v10, v8
	v_add_co_ci_u32_e64 v17, null, 0, v12, vcc_lo
	v_mov_b32_e32 v8, v1
	v_mov_b32_e32 v10, v1
	;; [unrolled: 1-line block ×3, first 2 shown]
	global_store_dwordx4 v[16:17], v[0:3], off
	global_store_dwordx4 v[16:17], v[4:7], off offset:16
	global_store_dwordx4 v[16:17], v[8:11], off offset:32
	;; [unrolled: 1-line block ×3, first 2 shown]
	s_endpgm
	.section	.rodata,"a",@progbits
	.p2align	6, 0x0
	.amdhsa_kernel _Z17warp_store_kernelILj256ELj8ELj64ELN6hipcub18WarpStoreAlgorithmE0EdEvPT3_
		.amdhsa_group_segment_fixed_size 0
		.amdhsa_private_segment_fixed_size 0
		.amdhsa_kernarg_size 8
		.amdhsa_user_sgpr_count 6
		.amdhsa_user_sgpr_private_segment_buffer 1
		.amdhsa_user_sgpr_dispatch_ptr 0
		.amdhsa_user_sgpr_queue_ptr 0
		.amdhsa_user_sgpr_kernarg_segment_ptr 1
		.amdhsa_user_sgpr_dispatch_id 0
		.amdhsa_user_sgpr_flat_scratch_init 0
		.amdhsa_user_sgpr_private_segment_size 0
		.amdhsa_wavefront_size32 1
		.amdhsa_uses_dynamic_stack 0
		.amdhsa_system_sgpr_private_segment_wavefront_offset 0
		.amdhsa_system_sgpr_workgroup_id_x 1
		.amdhsa_system_sgpr_workgroup_id_y 0
		.amdhsa_system_sgpr_workgroup_id_z 0
		.amdhsa_system_sgpr_workgroup_info 0
		.amdhsa_system_vgpr_workitem_id 0
		.amdhsa_next_free_vgpr 18
		.amdhsa_next_free_sgpr 7
		.amdhsa_reserve_vcc 1
		.amdhsa_reserve_flat_scratch 0
		.amdhsa_float_round_mode_32 0
		.amdhsa_float_round_mode_16_64 0
		.amdhsa_float_denorm_mode_32 3
		.amdhsa_float_denorm_mode_16_64 3
		.amdhsa_dx10_clamp 1
		.amdhsa_ieee_mode 1
		.amdhsa_fp16_overflow 0
		.amdhsa_workgroup_processor_mode 1
		.amdhsa_memory_ordered 1
		.amdhsa_forward_progress 1
		.amdhsa_shared_vgpr_count 0
		.amdhsa_exception_fp_ieee_invalid_op 0
		.amdhsa_exception_fp_denorm_src 0
		.amdhsa_exception_fp_ieee_div_zero 0
		.amdhsa_exception_fp_ieee_overflow 0
		.amdhsa_exception_fp_ieee_underflow 0
		.amdhsa_exception_fp_ieee_inexact 0
		.amdhsa_exception_int_div_zero 0
	.end_amdhsa_kernel
	.section	.text._Z17warp_store_kernelILj256ELj8ELj64ELN6hipcub18WarpStoreAlgorithmE0EdEvPT3_,"axG",@progbits,_Z17warp_store_kernelILj256ELj8ELj64ELN6hipcub18WarpStoreAlgorithmE0EdEvPT3_,comdat
.Lfunc_end60:
	.size	_Z17warp_store_kernelILj256ELj8ELj64ELN6hipcub18WarpStoreAlgorithmE0EdEvPT3_, .Lfunc_end60-_Z17warp_store_kernelILj256ELj8ELj64ELN6hipcub18WarpStoreAlgorithmE0EdEvPT3_
                                        ; -- End function
	.set _Z17warp_store_kernelILj256ELj8ELj64ELN6hipcub18WarpStoreAlgorithmE0EdEvPT3_.num_vgpr, 18
	.set _Z17warp_store_kernelILj256ELj8ELj64ELN6hipcub18WarpStoreAlgorithmE0EdEvPT3_.num_agpr, 0
	.set _Z17warp_store_kernelILj256ELj8ELj64ELN6hipcub18WarpStoreAlgorithmE0EdEvPT3_.numbered_sgpr, 7
	.set _Z17warp_store_kernelILj256ELj8ELj64ELN6hipcub18WarpStoreAlgorithmE0EdEvPT3_.num_named_barrier, 0
	.set _Z17warp_store_kernelILj256ELj8ELj64ELN6hipcub18WarpStoreAlgorithmE0EdEvPT3_.private_seg_size, 0
	.set _Z17warp_store_kernelILj256ELj8ELj64ELN6hipcub18WarpStoreAlgorithmE0EdEvPT3_.uses_vcc, 1
	.set _Z17warp_store_kernelILj256ELj8ELj64ELN6hipcub18WarpStoreAlgorithmE0EdEvPT3_.uses_flat_scratch, 0
	.set _Z17warp_store_kernelILj256ELj8ELj64ELN6hipcub18WarpStoreAlgorithmE0EdEvPT3_.has_dyn_sized_stack, 0
	.set _Z17warp_store_kernelILj256ELj8ELj64ELN6hipcub18WarpStoreAlgorithmE0EdEvPT3_.has_recursion, 0
	.set _Z17warp_store_kernelILj256ELj8ELj64ELN6hipcub18WarpStoreAlgorithmE0EdEvPT3_.has_indirect_call, 0
	.section	.AMDGPU.csdata,"",@progbits
; Kernel info:
; codeLenInByte = 208
; TotalNumSgprs: 9
; NumVgprs: 18
; ScratchSize: 0
; MemoryBound: 1
; FloatMode: 240
; IeeeMode: 1
; LDSByteSize: 0 bytes/workgroup (compile time only)
; SGPRBlocks: 0
; VGPRBlocks: 2
; NumSGPRsForWavesPerEU: 9
; NumVGPRsForWavesPerEU: 18
; Occupancy: 16
; WaveLimiterHint : 1
; COMPUTE_PGM_RSRC2:SCRATCH_EN: 0
; COMPUTE_PGM_RSRC2:USER_SGPR: 6
; COMPUTE_PGM_RSRC2:TRAP_HANDLER: 0
; COMPUTE_PGM_RSRC2:TGID_X_EN: 1
; COMPUTE_PGM_RSRC2:TGID_Y_EN: 0
; COMPUTE_PGM_RSRC2:TGID_Z_EN: 0
; COMPUTE_PGM_RSRC2:TIDIG_COMP_CNT: 0
	.section	.text._Z17warp_store_kernelILj256ELj8ELj64ELN6hipcub18WarpStoreAlgorithmE1EdEvPT3_,"axG",@progbits,_Z17warp_store_kernelILj256ELj8ELj64ELN6hipcub18WarpStoreAlgorithmE1EdEvPT3_,comdat
	.protected	_Z17warp_store_kernelILj256ELj8ELj64ELN6hipcub18WarpStoreAlgorithmE1EdEvPT3_ ; -- Begin function _Z17warp_store_kernelILj256ELj8ELj64ELN6hipcub18WarpStoreAlgorithmE1EdEvPT3_
	.globl	_Z17warp_store_kernelILj256ELj8ELj64ELN6hipcub18WarpStoreAlgorithmE1EdEvPT3_
	.p2align	8
	.type	_Z17warp_store_kernelILj256ELj8ELj64ELN6hipcub18WarpStoreAlgorithmE1EdEvPT3_,@function
_Z17warp_store_kernelILj256ELj8ELj64ELN6hipcub18WarpStoreAlgorithmE1EdEvPT3_: ; @_Z17warp_store_kernelILj256ELj8ELj64ELN6hipcub18WarpStoreAlgorithmE1EdEvPT3_
; %bb.0:
	s_load_dwordx2 s[0:1], s[4:5], 0x0
	v_lshlrev_b32_e32 v0, 3, v0
	s_lshl_b32 s2, s6, 11
	v_mov_b32_e32 v1, 0
	v_mbcnt_lo_u32_b32 v5, -1, 0
	v_mov_b32_e32 v4, 0x3ff00000
	v_and_or_b32 v0, 0x600, v0, s2
	v_mov_b32_e32 v6, 2.0
	v_mov_b32_e32 v10, 0x40080000
	v_lshlrev_b32_e32 v5, 3, v5
	v_mov_b32_e32 v9, v1
	v_lshlrev_b64 v[2:3], 3, v[0:1]
	v_mov_b32_e32 v0, v1
	v_mov_b32_e32 v12, 0x40140000
	;; [unrolled: 1-line block ×7, first 2 shown]
	s_waitcnt lgkmcnt(0)
	v_add_co_u32 v2, vcc_lo, s0, v2
	v_add_co_ci_u32_e64 v3, null, s1, v3, vcc_lo
	v_add_co_u32 v7, vcc_lo, v2, v5
	v_add_co_ci_u32_e64 v8, null, 0, v3, vcc_lo
	v_mov_b32_e32 v3, v1
	v_mov_b32_e32 v5, v1
	v_add_co_u32 v2, vcc_lo, 0x800, v7
	global_store_dwordx2 v[7:8], v[0:1], off
	global_store_dwordx2 v[7:8], v[3:4], off offset:512
	global_store_dwordx2 v[7:8], v[5:6], off offset:1024
	v_add_co_ci_u32_e64 v3, null, 0, v8, vcc_lo
	v_mov_b32_e32 v5, 0x40100000
	v_mov_b32_e32 v4, v1
	global_store_dwordx2 v[7:8], v[9:10], off offset:1536
	global_store_dwordx2 v[2:3], v[4:5], off
	global_store_dwordx2 v[2:3], v[11:12], off offset:512
	global_store_dwordx2 v[2:3], v[13:14], off offset:1024
	;; [unrolled: 1-line block ×3, first 2 shown]
	s_endpgm
	.section	.rodata,"a",@progbits
	.p2align	6, 0x0
	.amdhsa_kernel _Z17warp_store_kernelILj256ELj8ELj64ELN6hipcub18WarpStoreAlgorithmE1EdEvPT3_
		.amdhsa_group_segment_fixed_size 0
		.amdhsa_private_segment_fixed_size 0
		.amdhsa_kernarg_size 8
		.amdhsa_user_sgpr_count 6
		.amdhsa_user_sgpr_private_segment_buffer 1
		.amdhsa_user_sgpr_dispatch_ptr 0
		.amdhsa_user_sgpr_queue_ptr 0
		.amdhsa_user_sgpr_kernarg_segment_ptr 1
		.amdhsa_user_sgpr_dispatch_id 0
		.amdhsa_user_sgpr_flat_scratch_init 0
		.amdhsa_user_sgpr_private_segment_size 0
		.amdhsa_wavefront_size32 1
		.amdhsa_uses_dynamic_stack 0
		.amdhsa_system_sgpr_private_segment_wavefront_offset 0
		.amdhsa_system_sgpr_workgroup_id_x 1
		.amdhsa_system_sgpr_workgroup_id_y 0
		.amdhsa_system_sgpr_workgroup_id_z 0
		.amdhsa_system_sgpr_workgroup_info 0
		.amdhsa_system_vgpr_workitem_id 0
		.amdhsa_next_free_vgpr 17
		.amdhsa_next_free_sgpr 7
		.amdhsa_reserve_vcc 1
		.amdhsa_reserve_flat_scratch 0
		.amdhsa_float_round_mode_32 0
		.amdhsa_float_round_mode_16_64 0
		.amdhsa_float_denorm_mode_32 3
		.amdhsa_float_denorm_mode_16_64 3
		.amdhsa_dx10_clamp 1
		.amdhsa_ieee_mode 1
		.amdhsa_fp16_overflow 0
		.amdhsa_workgroup_processor_mode 1
		.amdhsa_memory_ordered 1
		.amdhsa_forward_progress 1
		.amdhsa_shared_vgpr_count 0
		.amdhsa_exception_fp_ieee_invalid_op 0
		.amdhsa_exception_fp_denorm_src 0
		.amdhsa_exception_fp_ieee_div_zero 0
		.amdhsa_exception_fp_ieee_overflow 0
		.amdhsa_exception_fp_ieee_underflow 0
		.amdhsa_exception_fp_ieee_inexact 0
		.amdhsa_exception_int_div_zero 0
	.end_amdhsa_kernel
	.section	.text._Z17warp_store_kernelILj256ELj8ELj64ELN6hipcub18WarpStoreAlgorithmE1EdEvPT3_,"axG",@progbits,_Z17warp_store_kernelILj256ELj8ELj64ELN6hipcub18WarpStoreAlgorithmE1EdEvPT3_,comdat
.Lfunc_end61:
	.size	_Z17warp_store_kernelILj256ELj8ELj64ELN6hipcub18WarpStoreAlgorithmE1EdEvPT3_, .Lfunc_end61-_Z17warp_store_kernelILj256ELj8ELj64ELN6hipcub18WarpStoreAlgorithmE1EdEvPT3_
                                        ; -- End function
	.set _Z17warp_store_kernelILj256ELj8ELj64ELN6hipcub18WarpStoreAlgorithmE1EdEvPT3_.num_vgpr, 17
	.set _Z17warp_store_kernelILj256ELj8ELj64ELN6hipcub18WarpStoreAlgorithmE1EdEvPT3_.num_agpr, 0
	.set _Z17warp_store_kernelILj256ELj8ELj64ELN6hipcub18WarpStoreAlgorithmE1EdEvPT3_.numbered_sgpr, 7
	.set _Z17warp_store_kernelILj256ELj8ELj64ELN6hipcub18WarpStoreAlgorithmE1EdEvPT3_.num_named_barrier, 0
	.set _Z17warp_store_kernelILj256ELj8ELj64ELN6hipcub18WarpStoreAlgorithmE1EdEvPT3_.private_seg_size, 0
	.set _Z17warp_store_kernelILj256ELj8ELj64ELN6hipcub18WarpStoreAlgorithmE1EdEvPT3_.uses_vcc, 1
	.set _Z17warp_store_kernelILj256ELj8ELj64ELN6hipcub18WarpStoreAlgorithmE1EdEvPT3_.uses_flat_scratch, 0
	.set _Z17warp_store_kernelILj256ELj8ELj64ELN6hipcub18WarpStoreAlgorithmE1EdEvPT3_.has_dyn_sized_stack, 0
	.set _Z17warp_store_kernelILj256ELj8ELj64ELN6hipcub18WarpStoreAlgorithmE1EdEvPT3_.has_recursion, 0
	.set _Z17warp_store_kernelILj256ELj8ELj64ELN6hipcub18WarpStoreAlgorithmE1EdEvPT3_.has_indirect_call, 0
	.section	.AMDGPU.csdata,"",@progbits
; Kernel info:
; codeLenInByte = 260
; TotalNumSgprs: 9
; NumVgprs: 17
; ScratchSize: 0
; MemoryBound: 0
; FloatMode: 240
; IeeeMode: 1
; LDSByteSize: 0 bytes/workgroup (compile time only)
; SGPRBlocks: 0
; VGPRBlocks: 2
; NumSGPRsForWavesPerEU: 9
; NumVGPRsForWavesPerEU: 17
; Occupancy: 16
; WaveLimiterHint : 1
; COMPUTE_PGM_RSRC2:SCRATCH_EN: 0
; COMPUTE_PGM_RSRC2:USER_SGPR: 6
; COMPUTE_PGM_RSRC2:TRAP_HANDLER: 0
; COMPUTE_PGM_RSRC2:TGID_X_EN: 1
; COMPUTE_PGM_RSRC2:TGID_Y_EN: 0
; COMPUTE_PGM_RSRC2:TGID_Z_EN: 0
; COMPUTE_PGM_RSRC2:TIDIG_COMP_CNT: 0
	.section	.text._Z17warp_store_kernelILj256ELj8ELj64ELN6hipcub18WarpStoreAlgorithmE2EdEvPT3_,"axG",@progbits,_Z17warp_store_kernelILj256ELj8ELj64ELN6hipcub18WarpStoreAlgorithmE2EdEvPT3_,comdat
	.protected	_Z17warp_store_kernelILj256ELj8ELj64ELN6hipcub18WarpStoreAlgorithmE2EdEvPT3_ ; -- Begin function _Z17warp_store_kernelILj256ELj8ELj64ELN6hipcub18WarpStoreAlgorithmE2EdEvPT3_
	.globl	_Z17warp_store_kernelILj256ELj8ELj64ELN6hipcub18WarpStoreAlgorithmE2EdEvPT3_
	.p2align	8
	.type	_Z17warp_store_kernelILj256ELj8ELj64ELN6hipcub18WarpStoreAlgorithmE2EdEvPT3_,@function
_Z17warp_store_kernelILj256ELj8ELj64ELN6hipcub18WarpStoreAlgorithmE2EdEvPT3_: ; @_Z17warp_store_kernelILj256ELj8ELj64ELN6hipcub18WarpStoreAlgorithmE2EdEvPT3_
; %bb.0:
	s_load_dwordx2 s[0:1], s[4:5], 0x0
	v_lshlrev_b32_e32 v0, 3, v0
	s_lshl_b32 s2, s6, 11
	v_mov_b32_e32 v1, 0
	v_mbcnt_lo_u32_b32 v2, -1, 0
	v_mov_b32_e32 v3, 0x3ff00000
	v_and_or_b32 v0, 0x600, v0, s2
	v_mov_b32_e32 v5, 2.0
	v_mov_b32_e32 v7, 0x40080000
	v_lshlrev_b32_e32 v8, 6, v2
	v_mov_b32_e32 v2, v1
	v_lshlrev_b64 v[12:13], 3, v[0:1]
	v_mov_b32_e32 v0, v1
	v_mov_b32_e32 v4, v1
	;; [unrolled: 1-line block ×7, first 2 shown]
	s_waitcnt lgkmcnt(0)
	v_add_co_u32 v10, vcc_lo, s0, v12
	v_add_co_ci_u32_e64 v12, null, s1, v13, vcc_lo
	v_mov_b32_e32 v13, 0x40180000
	v_add_co_u32 v16, vcc_lo, v10, v8
	v_add_co_ci_u32_e64 v17, null, 0, v12, vcc_lo
	v_mov_b32_e32 v8, v1
	v_mov_b32_e32 v10, v1
	;; [unrolled: 1-line block ×3, first 2 shown]
	global_store_dwordx4 v[16:17], v[0:3], off
	global_store_dwordx4 v[16:17], v[4:7], off offset:16
	global_store_dwordx4 v[16:17], v[8:11], off offset:32
	;; [unrolled: 1-line block ×3, first 2 shown]
	s_endpgm
	.section	.rodata,"a",@progbits
	.p2align	6, 0x0
	.amdhsa_kernel _Z17warp_store_kernelILj256ELj8ELj64ELN6hipcub18WarpStoreAlgorithmE2EdEvPT3_
		.amdhsa_group_segment_fixed_size 0
		.amdhsa_private_segment_fixed_size 0
		.amdhsa_kernarg_size 8
		.amdhsa_user_sgpr_count 6
		.amdhsa_user_sgpr_private_segment_buffer 1
		.amdhsa_user_sgpr_dispatch_ptr 0
		.amdhsa_user_sgpr_queue_ptr 0
		.amdhsa_user_sgpr_kernarg_segment_ptr 1
		.amdhsa_user_sgpr_dispatch_id 0
		.amdhsa_user_sgpr_flat_scratch_init 0
		.amdhsa_user_sgpr_private_segment_size 0
		.amdhsa_wavefront_size32 1
		.amdhsa_uses_dynamic_stack 0
		.amdhsa_system_sgpr_private_segment_wavefront_offset 0
		.amdhsa_system_sgpr_workgroup_id_x 1
		.amdhsa_system_sgpr_workgroup_id_y 0
		.amdhsa_system_sgpr_workgroup_id_z 0
		.amdhsa_system_sgpr_workgroup_info 0
		.amdhsa_system_vgpr_workitem_id 0
		.amdhsa_next_free_vgpr 18
		.amdhsa_next_free_sgpr 7
		.amdhsa_reserve_vcc 1
		.amdhsa_reserve_flat_scratch 0
		.amdhsa_float_round_mode_32 0
		.amdhsa_float_round_mode_16_64 0
		.amdhsa_float_denorm_mode_32 3
		.amdhsa_float_denorm_mode_16_64 3
		.amdhsa_dx10_clamp 1
		.amdhsa_ieee_mode 1
		.amdhsa_fp16_overflow 0
		.amdhsa_workgroup_processor_mode 1
		.amdhsa_memory_ordered 1
		.amdhsa_forward_progress 1
		.amdhsa_shared_vgpr_count 0
		.amdhsa_exception_fp_ieee_invalid_op 0
		.amdhsa_exception_fp_denorm_src 0
		.amdhsa_exception_fp_ieee_div_zero 0
		.amdhsa_exception_fp_ieee_overflow 0
		.amdhsa_exception_fp_ieee_underflow 0
		.amdhsa_exception_fp_ieee_inexact 0
		.amdhsa_exception_int_div_zero 0
	.end_amdhsa_kernel
	.section	.text._Z17warp_store_kernelILj256ELj8ELj64ELN6hipcub18WarpStoreAlgorithmE2EdEvPT3_,"axG",@progbits,_Z17warp_store_kernelILj256ELj8ELj64ELN6hipcub18WarpStoreAlgorithmE2EdEvPT3_,comdat
.Lfunc_end62:
	.size	_Z17warp_store_kernelILj256ELj8ELj64ELN6hipcub18WarpStoreAlgorithmE2EdEvPT3_, .Lfunc_end62-_Z17warp_store_kernelILj256ELj8ELj64ELN6hipcub18WarpStoreAlgorithmE2EdEvPT3_
                                        ; -- End function
	.set _Z17warp_store_kernelILj256ELj8ELj64ELN6hipcub18WarpStoreAlgorithmE2EdEvPT3_.num_vgpr, 18
	.set _Z17warp_store_kernelILj256ELj8ELj64ELN6hipcub18WarpStoreAlgorithmE2EdEvPT3_.num_agpr, 0
	.set _Z17warp_store_kernelILj256ELj8ELj64ELN6hipcub18WarpStoreAlgorithmE2EdEvPT3_.numbered_sgpr, 7
	.set _Z17warp_store_kernelILj256ELj8ELj64ELN6hipcub18WarpStoreAlgorithmE2EdEvPT3_.num_named_barrier, 0
	.set _Z17warp_store_kernelILj256ELj8ELj64ELN6hipcub18WarpStoreAlgorithmE2EdEvPT3_.private_seg_size, 0
	.set _Z17warp_store_kernelILj256ELj8ELj64ELN6hipcub18WarpStoreAlgorithmE2EdEvPT3_.uses_vcc, 1
	.set _Z17warp_store_kernelILj256ELj8ELj64ELN6hipcub18WarpStoreAlgorithmE2EdEvPT3_.uses_flat_scratch, 0
	.set _Z17warp_store_kernelILj256ELj8ELj64ELN6hipcub18WarpStoreAlgorithmE2EdEvPT3_.has_dyn_sized_stack, 0
	.set _Z17warp_store_kernelILj256ELj8ELj64ELN6hipcub18WarpStoreAlgorithmE2EdEvPT3_.has_recursion, 0
	.set _Z17warp_store_kernelILj256ELj8ELj64ELN6hipcub18WarpStoreAlgorithmE2EdEvPT3_.has_indirect_call, 0
	.section	.AMDGPU.csdata,"",@progbits
; Kernel info:
; codeLenInByte = 208
; TotalNumSgprs: 9
; NumVgprs: 18
; ScratchSize: 0
; MemoryBound: 1
; FloatMode: 240
; IeeeMode: 1
; LDSByteSize: 0 bytes/workgroup (compile time only)
; SGPRBlocks: 0
; VGPRBlocks: 2
; NumSGPRsForWavesPerEU: 9
; NumVGPRsForWavesPerEU: 18
; Occupancy: 16
; WaveLimiterHint : 1
; COMPUTE_PGM_RSRC2:SCRATCH_EN: 0
; COMPUTE_PGM_RSRC2:USER_SGPR: 6
; COMPUTE_PGM_RSRC2:TRAP_HANDLER: 0
; COMPUTE_PGM_RSRC2:TGID_X_EN: 1
; COMPUTE_PGM_RSRC2:TGID_Y_EN: 0
; COMPUTE_PGM_RSRC2:TGID_Z_EN: 0
; COMPUTE_PGM_RSRC2:TIDIG_COMP_CNT: 0
	.section	.text._Z17warp_store_kernelILj256ELj8ELj64ELN6hipcub18WarpStoreAlgorithmE3EdEvPT3_,"axG",@progbits,_Z17warp_store_kernelILj256ELj8ELj64ELN6hipcub18WarpStoreAlgorithmE3EdEvPT3_,comdat
	.protected	_Z17warp_store_kernelILj256ELj8ELj64ELN6hipcub18WarpStoreAlgorithmE3EdEvPT3_ ; -- Begin function _Z17warp_store_kernelILj256ELj8ELj64ELN6hipcub18WarpStoreAlgorithmE3EdEvPT3_
	.globl	_Z17warp_store_kernelILj256ELj8ELj64ELN6hipcub18WarpStoreAlgorithmE3EdEvPT3_
	.p2align	8
	.type	_Z17warp_store_kernelILj256ELj8ELj64ELN6hipcub18WarpStoreAlgorithmE3EdEvPT3_,@function
_Z17warp_store_kernelILj256ELj8ELj64ELN6hipcub18WarpStoreAlgorithmE3EdEvPT3_: ; @_Z17warp_store_kernelILj256ELj8ELj64ELN6hipcub18WarpStoreAlgorithmE3EdEvPT3_
; %bb.0:
	v_lshrrev_b32_e32 v2, 6, v0
	v_mbcnt_lo_u32_b32 v4, -1, 0
	s_lshl_b32 s0, s6, 11
	v_mov_b32_e32 v1, 0
	v_mov_b32_e32 v3, 0x3ff00000
	v_lshl_or_b32 v0, v2, 9, s0
	s_load_dwordx2 s[0:1], s[4:5], 0x0
	v_lshlrev_b32_e32 v18, 12, v2
	v_lshlrev_b32_e32 v19, 3, v4
	v_mov_b32_e32 v2, v1
	v_lshlrev_b64 v[16:17], 3, v[0:1]
	v_mov_b32_e32 v0, v1
	v_lshl_or_b32 v20, v4, 6, v18
	v_mov_b32_e32 v9, 0x40100000
	v_mov_b32_e32 v11, 0x40140000
	;; [unrolled: 1-line block ×4, first 2 shown]
	v_or_b32_e32 v18, v18, v19
	v_mov_b32_e32 v5, 2.0
	v_mov_b32_e32 v7, 0x40080000
	v_mov_b32_e32 v4, v1
	;; [unrolled: 1-line block ×7, first 2 shown]
	ds_write_b128 v20, v[0:3]
	ds_write_b128 v20, v[4:7] offset:16
	ds_write_b128 v20, v[8:11] offset:32
	;; [unrolled: 1-line block ×3, first 2 shown]
	; wave barrier
	ds_read2st64_b64 v[0:3], v18 offset1:1
	ds_read2st64_b64 v[4:7], v18 offset0:2 offset1:3
	ds_read2st64_b64 v[8:11], v18 offset0:4 offset1:5
	;; [unrolled: 1-line block ×3, first 2 shown]
	s_waitcnt lgkmcnt(0)
	v_add_co_u32 v16, vcc_lo, s0, v16
	v_add_co_ci_u32_e64 v17, null, s1, v17, vcc_lo
	v_add_co_u32 v16, vcc_lo, v16, v19
	v_add_co_ci_u32_e64 v17, null, 0, v17, vcc_lo
	;; [unrolled: 2-line block ×3, first 2 shown]
	global_store_dwordx2 v[16:17], v[0:1], off
	global_store_dwordx2 v[16:17], v[2:3], off offset:512
	global_store_dwordx2 v[16:17], v[4:5], off offset:1024
	;; [unrolled: 1-line block ×3, first 2 shown]
	global_store_dwordx2 v[18:19], v[8:9], off
	global_store_dwordx2 v[18:19], v[10:11], off offset:512
	global_store_dwordx2 v[18:19], v[12:13], off offset:1024
	;; [unrolled: 1-line block ×3, first 2 shown]
	s_endpgm
	.section	.rodata,"a",@progbits
	.p2align	6, 0x0
	.amdhsa_kernel _Z17warp_store_kernelILj256ELj8ELj64ELN6hipcub18WarpStoreAlgorithmE3EdEvPT3_
		.amdhsa_group_segment_fixed_size 16384
		.amdhsa_private_segment_fixed_size 0
		.amdhsa_kernarg_size 8
		.amdhsa_user_sgpr_count 6
		.amdhsa_user_sgpr_private_segment_buffer 1
		.amdhsa_user_sgpr_dispatch_ptr 0
		.amdhsa_user_sgpr_queue_ptr 0
		.amdhsa_user_sgpr_kernarg_segment_ptr 1
		.amdhsa_user_sgpr_dispatch_id 0
		.amdhsa_user_sgpr_flat_scratch_init 0
		.amdhsa_user_sgpr_private_segment_size 0
		.amdhsa_wavefront_size32 1
		.amdhsa_uses_dynamic_stack 0
		.amdhsa_system_sgpr_private_segment_wavefront_offset 0
		.amdhsa_system_sgpr_workgroup_id_x 1
		.amdhsa_system_sgpr_workgroup_id_y 0
		.amdhsa_system_sgpr_workgroup_id_z 0
		.amdhsa_system_sgpr_workgroup_info 0
		.amdhsa_system_vgpr_workitem_id 0
		.amdhsa_next_free_vgpr 21
		.amdhsa_next_free_sgpr 7
		.amdhsa_reserve_vcc 1
		.amdhsa_reserve_flat_scratch 0
		.amdhsa_float_round_mode_32 0
		.amdhsa_float_round_mode_16_64 0
		.amdhsa_float_denorm_mode_32 3
		.amdhsa_float_denorm_mode_16_64 3
		.amdhsa_dx10_clamp 1
		.amdhsa_ieee_mode 1
		.amdhsa_fp16_overflow 0
		.amdhsa_workgroup_processor_mode 1
		.amdhsa_memory_ordered 1
		.amdhsa_forward_progress 1
		.amdhsa_shared_vgpr_count 0
		.amdhsa_exception_fp_ieee_invalid_op 0
		.amdhsa_exception_fp_denorm_src 0
		.amdhsa_exception_fp_ieee_div_zero 0
		.amdhsa_exception_fp_ieee_overflow 0
		.amdhsa_exception_fp_ieee_underflow 0
		.amdhsa_exception_fp_ieee_inexact 0
		.amdhsa_exception_int_div_zero 0
	.end_amdhsa_kernel
	.section	.text._Z17warp_store_kernelILj256ELj8ELj64ELN6hipcub18WarpStoreAlgorithmE3EdEvPT3_,"axG",@progbits,_Z17warp_store_kernelILj256ELj8ELj64ELN6hipcub18WarpStoreAlgorithmE3EdEvPT3_,comdat
.Lfunc_end63:
	.size	_Z17warp_store_kernelILj256ELj8ELj64ELN6hipcub18WarpStoreAlgorithmE3EdEvPT3_, .Lfunc_end63-_Z17warp_store_kernelILj256ELj8ELj64ELN6hipcub18WarpStoreAlgorithmE3EdEvPT3_
                                        ; -- End function
	.set _Z17warp_store_kernelILj256ELj8ELj64ELN6hipcub18WarpStoreAlgorithmE3EdEvPT3_.num_vgpr, 21
	.set _Z17warp_store_kernelILj256ELj8ELj64ELN6hipcub18WarpStoreAlgorithmE3EdEvPT3_.num_agpr, 0
	.set _Z17warp_store_kernelILj256ELj8ELj64ELN6hipcub18WarpStoreAlgorithmE3EdEvPT3_.numbered_sgpr, 7
	.set _Z17warp_store_kernelILj256ELj8ELj64ELN6hipcub18WarpStoreAlgorithmE3EdEvPT3_.num_named_barrier, 0
	.set _Z17warp_store_kernelILj256ELj8ELj64ELN6hipcub18WarpStoreAlgorithmE3EdEvPT3_.private_seg_size, 0
	.set _Z17warp_store_kernelILj256ELj8ELj64ELN6hipcub18WarpStoreAlgorithmE3EdEvPT3_.uses_vcc, 1
	.set _Z17warp_store_kernelILj256ELj8ELj64ELN6hipcub18WarpStoreAlgorithmE3EdEvPT3_.uses_flat_scratch, 0
	.set _Z17warp_store_kernelILj256ELj8ELj64ELN6hipcub18WarpStoreAlgorithmE3EdEvPT3_.has_dyn_sized_stack, 0
	.set _Z17warp_store_kernelILj256ELj8ELj64ELN6hipcub18WarpStoreAlgorithmE3EdEvPT3_.has_recursion, 0
	.set _Z17warp_store_kernelILj256ELj8ELj64ELN6hipcub18WarpStoreAlgorithmE3EdEvPT3_.has_indirect_call, 0
	.section	.AMDGPU.csdata,"",@progbits
; Kernel info:
; codeLenInByte = 336
; TotalNumSgprs: 9
; NumVgprs: 21
; ScratchSize: 0
; MemoryBound: 1
; FloatMode: 240
; IeeeMode: 1
; LDSByteSize: 16384 bytes/workgroup (compile time only)
; SGPRBlocks: 0
; VGPRBlocks: 2
; NumSGPRsForWavesPerEU: 9
; NumVGPRsForWavesPerEU: 21
; Occupancy: 16
; WaveLimiterHint : 1
; COMPUTE_PGM_RSRC2:SCRATCH_EN: 0
; COMPUTE_PGM_RSRC2:USER_SGPR: 6
; COMPUTE_PGM_RSRC2:TRAP_HANDLER: 0
; COMPUTE_PGM_RSRC2:TGID_X_EN: 1
; COMPUTE_PGM_RSRC2:TGID_Y_EN: 0
; COMPUTE_PGM_RSRC2:TGID_Z_EN: 0
; COMPUTE_PGM_RSRC2:TIDIG_COMP_CNT: 0
	.section	.text._Z17warp_store_kernelILj256ELj16ELj64ELN6hipcub18WarpStoreAlgorithmE0EdEvPT3_,"axG",@progbits,_Z17warp_store_kernelILj256ELj16ELj64ELN6hipcub18WarpStoreAlgorithmE0EdEvPT3_,comdat
	.protected	_Z17warp_store_kernelILj256ELj16ELj64ELN6hipcub18WarpStoreAlgorithmE0EdEvPT3_ ; -- Begin function _Z17warp_store_kernelILj256ELj16ELj64ELN6hipcub18WarpStoreAlgorithmE0EdEvPT3_
	.globl	_Z17warp_store_kernelILj256ELj16ELj64ELN6hipcub18WarpStoreAlgorithmE0EdEvPT3_
	.p2align	8
	.type	_Z17warp_store_kernelILj256ELj16ELj64ELN6hipcub18WarpStoreAlgorithmE0EdEvPT3_,@function
_Z17warp_store_kernelILj256ELj16ELj64ELN6hipcub18WarpStoreAlgorithmE0EdEvPT3_: ; @_Z17warp_store_kernelILj256ELj16ELj64ELN6hipcub18WarpStoreAlgorithmE0EdEvPT3_
; %bb.0:
	s_load_dwordx2 s[0:1], s[4:5], 0x0
	v_lshlrev_b32_e32 v0, 4, v0
	s_lshl_b32 s2, s6, 12
	v_mov_b32_e32 v1, 0
	v_mbcnt_lo_u32_b32 v2, -1, 0
	v_mov_b32_e32 v3, 0x3ff00000
	v_and_or_b32 v0, 0xc00, v0, s2
	v_mov_b32_e32 v5, 2.0
	v_mov_b32_e32 v7, 0x40080000
	v_lshlrev_b32_e32 v8, 7, v2
	v_mov_b32_e32 v2, v1
	v_lshlrev_b64 v[12:13], 3, v[0:1]
	v_mov_b32_e32 v0, v1
	v_mov_b32_e32 v4, v1
	;; [unrolled: 1-line block ×8, first 2 shown]
	s_waitcnt lgkmcnt(0)
	v_add_co_u32 v10, vcc_lo, s0, v12
	v_add_co_ci_u32_e64 v12, null, s1, v13, vcc_lo
	v_mov_b32_e32 v13, 0x40260000
	v_add_co_u32 v22, vcc_lo, v10, v8
	v_add_co_ci_u32_e64 v23, null, 0, v12, vcc_lo
	v_mov_b32_e32 v8, v1
	v_mov_b32_e32 v10, v1
	;; [unrolled: 1-line block ×3, first 2 shown]
	global_store_dwordx4 v[22:23], v[0:3], off
	global_store_dwordx4 v[22:23], v[4:7], off offset:16
	global_store_dwordx4 v[22:23], v[8:11], off offset:32
	v_mov_b32_e32 v3, 0x40180000
	v_mov_b32_e32 v5, 0x401c0000
	;; [unrolled: 1-line block ×10, first 2 shown]
	global_store_dwordx4 v[22:23], v[2:5], off offset:48
	global_store_dwordx4 v[22:23], v[6:9], off offset:64
	;; [unrolled: 1-line block ×5, first 2 shown]
	s_endpgm
	.section	.rodata,"a",@progbits
	.p2align	6, 0x0
	.amdhsa_kernel _Z17warp_store_kernelILj256ELj16ELj64ELN6hipcub18WarpStoreAlgorithmE0EdEvPT3_
		.amdhsa_group_segment_fixed_size 0
		.amdhsa_private_segment_fixed_size 0
		.amdhsa_kernarg_size 8
		.amdhsa_user_sgpr_count 6
		.amdhsa_user_sgpr_private_segment_buffer 1
		.amdhsa_user_sgpr_dispatch_ptr 0
		.amdhsa_user_sgpr_queue_ptr 0
		.amdhsa_user_sgpr_kernarg_segment_ptr 1
		.amdhsa_user_sgpr_dispatch_id 0
		.amdhsa_user_sgpr_flat_scratch_init 0
		.amdhsa_user_sgpr_private_segment_size 0
		.amdhsa_wavefront_size32 1
		.amdhsa_uses_dynamic_stack 0
		.amdhsa_system_sgpr_private_segment_wavefront_offset 0
		.amdhsa_system_sgpr_workgroup_id_x 1
		.amdhsa_system_sgpr_workgroup_id_y 0
		.amdhsa_system_sgpr_workgroup_id_z 0
		.amdhsa_system_sgpr_workgroup_info 0
		.amdhsa_system_vgpr_workitem_id 0
		.amdhsa_next_free_vgpr 24
		.amdhsa_next_free_sgpr 7
		.amdhsa_reserve_vcc 1
		.amdhsa_reserve_flat_scratch 0
		.amdhsa_float_round_mode_32 0
		.amdhsa_float_round_mode_16_64 0
		.amdhsa_float_denorm_mode_32 3
		.amdhsa_float_denorm_mode_16_64 3
		.amdhsa_dx10_clamp 1
		.amdhsa_ieee_mode 1
		.amdhsa_fp16_overflow 0
		.amdhsa_workgroup_processor_mode 1
		.amdhsa_memory_ordered 1
		.amdhsa_forward_progress 1
		.amdhsa_shared_vgpr_count 0
		.amdhsa_exception_fp_ieee_invalid_op 0
		.amdhsa_exception_fp_denorm_src 0
		.amdhsa_exception_fp_ieee_div_zero 0
		.amdhsa_exception_fp_ieee_overflow 0
		.amdhsa_exception_fp_ieee_underflow 0
		.amdhsa_exception_fp_ieee_inexact 0
		.amdhsa_exception_int_div_zero 0
	.end_amdhsa_kernel
	.section	.text._Z17warp_store_kernelILj256ELj16ELj64ELN6hipcub18WarpStoreAlgorithmE0EdEvPT3_,"axG",@progbits,_Z17warp_store_kernelILj256ELj16ELj64ELN6hipcub18WarpStoreAlgorithmE0EdEvPT3_,comdat
.Lfunc_end64:
	.size	_Z17warp_store_kernelILj256ELj16ELj64ELN6hipcub18WarpStoreAlgorithmE0EdEvPT3_, .Lfunc_end64-_Z17warp_store_kernelILj256ELj16ELj64ELN6hipcub18WarpStoreAlgorithmE0EdEvPT3_
                                        ; -- End function
	.set _Z17warp_store_kernelILj256ELj16ELj64ELN6hipcub18WarpStoreAlgorithmE0EdEvPT3_.num_vgpr, 24
	.set _Z17warp_store_kernelILj256ELj16ELj64ELN6hipcub18WarpStoreAlgorithmE0EdEvPT3_.num_agpr, 0
	.set _Z17warp_store_kernelILj256ELj16ELj64ELN6hipcub18WarpStoreAlgorithmE0EdEvPT3_.numbered_sgpr, 7
	.set _Z17warp_store_kernelILj256ELj16ELj64ELN6hipcub18WarpStoreAlgorithmE0EdEvPT3_.num_named_barrier, 0
	.set _Z17warp_store_kernelILj256ELj16ELj64ELN6hipcub18WarpStoreAlgorithmE0EdEvPT3_.private_seg_size, 0
	.set _Z17warp_store_kernelILj256ELj16ELj64ELN6hipcub18WarpStoreAlgorithmE0EdEvPT3_.uses_vcc, 1
	.set _Z17warp_store_kernelILj256ELj16ELj64ELN6hipcub18WarpStoreAlgorithmE0EdEvPT3_.uses_flat_scratch, 0
	.set _Z17warp_store_kernelILj256ELj16ELj64ELN6hipcub18WarpStoreAlgorithmE0EdEvPT3_.has_dyn_sized_stack, 0
	.set _Z17warp_store_kernelILj256ELj16ELj64ELN6hipcub18WarpStoreAlgorithmE0EdEvPT3_.has_recursion, 0
	.set _Z17warp_store_kernelILj256ELj16ELj64ELN6hipcub18WarpStoreAlgorithmE0EdEvPT3_.has_indirect_call, 0
	.section	.AMDGPU.csdata,"",@progbits
; Kernel info:
; codeLenInByte = 316
; TotalNumSgprs: 9
; NumVgprs: 24
; ScratchSize: 0
; MemoryBound: 1
; FloatMode: 240
; IeeeMode: 1
; LDSByteSize: 0 bytes/workgroup (compile time only)
; SGPRBlocks: 0
; VGPRBlocks: 2
; NumSGPRsForWavesPerEU: 9
; NumVGPRsForWavesPerEU: 24
; Occupancy: 16
; WaveLimiterHint : 1
; COMPUTE_PGM_RSRC2:SCRATCH_EN: 0
; COMPUTE_PGM_RSRC2:USER_SGPR: 6
; COMPUTE_PGM_RSRC2:TRAP_HANDLER: 0
; COMPUTE_PGM_RSRC2:TGID_X_EN: 1
; COMPUTE_PGM_RSRC2:TGID_Y_EN: 0
; COMPUTE_PGM_RSRC2:TGID_Z_EN: 0
; COMPUTE_PGM_RSRC2:TIDIG_COMP_CNT: 0
	.section	.text._Z17warp_store_kernelILj256ELj16ELj64ELN6hipcub18WarpStoreAlgorithmE1EdEvPT3_,"axG",@progbits,_Z17warp_store_kernelILj256ELj16ELj64ELN6hipcub18WarpStoreAlgorithmE1EdEvPT3_,comdat
	.protected	_Z17warp_store_kernelILj256ELj16ELj64ELN6hipcub18WarpStoreAlgorithmE1EdEvPT3_ ; -- Begin function _Z17warp_store_kernelILj256ELj16ELj64ELN6hipcub18WarpStoreAlgorithmE1EdEvPT3_
	.globl	_Z17warp_store_kernelILj256ELj16ELj64ELN6hipcub18WarpStoreAlgorithmE1EdEvPT3_
	.p2align	8
	.type	_Z17warp_store_kernelILj256ELj16ELj64ELN6hipcub18WarpStoreAlgorithmE1EdEvPT3_,@function
_Z17warp_store_kernelILj256ELj16ELj64ELN6hipcub18WarpStoreAlgorithmE1EdEvPT3_: ; @_Z17warp_store_kernelILj256ELj16ELj64ELN6hipcub18WarpStoreAlgorithmE1EdEvPT3_
; %bb.0:
	s_load_dwordx2 s[0:1], s[4:5], 0x0
	v_lshlrev_b32_e32 v0, 4, v0
	s_lshl_b32 s2, s6, 12
	v_mov_b32_e32 v1, 0
	v_mbcnt_lo_u32_b32 v2, -1, 0
	v_mov_b32_e32 v3, 0x3ff00000
	v_and_or_b32 v0, 0xc00, v0, s2
	v_mov_b32_e32 v6, 2.0
	v_mov_b32_e32 v8, 0x40080000
	v_lshlrev_b32_e32 v2, 3, v2
	v_mov_b32_e32 v7, v1
	v_lshlrev_b64 v[4:5], 3, v[0:1]
	v_mov_b32_e32 v0, v1
	v_mov_b32_e32 v10, 0x40100000
	;; [unrolled: 1-line block ×7, first 2 shown]
	s_waitcnt lgkmcnt(0)
	v_add_co_u32 v4, vcc_lo, s0, v4
	v_add_co_ci_u32_e64 v5, null, s1, v5, vcc_lo
	v_add_co_u32 v11, vcc_lo, v4, v2
	v_add_co_ci_u32_e64 v12, null, 0, v5, vcc_lo
	v_mov_b32_e32 v2, v1
	v_add_co_u32 v13, vcc_lo, 0x800, v11
	v_mov_b32_e32 v5, v1
	v_add_co_ci_u32_e64 v14, null, 0, v12, vcc_lo
	v_add_co_u32 v15, vcc_lo, v11, 0x1000
	v_add_co_ci_u32_e64 v16, null, 0, v12, vcc_lo
	global_store_dwordx2 v[11:12], v[0:1], off
	global_store_dwordx2 v[11:12], v[2:3], off offset:512
	global_store_dwordx2 v[11:12], v[5:6], off offset:1024
	;; [unrolled: 1-line block ×3, first 2 shown]
	global_store_dwordx2 v[15:16], v[9:10], off offset:-2048
	global_store_dwordx2 v[13:14], v[17:18], off offset:512
	v_mov_b32_e32 v3, 0x40180000
	v_mov_b32_e32 v5, 0x401c0000
	;; [unrolled: 1-line block ×3, first 2 shown]
	v_add_co_u32 v6, vcc_lo, 0x1000, v11
	v_mov_b32_e32 v9, 0x40200000
	v_mov_b32_e32 v8, v1
	v_add_co_ci_u32_e64 v7, null, 0, v12, vcc_lo
	v_mov_b32_e32 v18, 0x40220000
	global_store_dwordx2 v[13:14], v[2:3], off offset:1024
	global_store_dwordx2 v[13:14], v[4:5], off offset:1536
	global_store_dwordx2 v[15:16], v[8:9], off
	global_store_dwordx2 v[6:7], v[17:18], off offset:512
	global_store_dwordx2 v[6:7], v[19:20], off offset:1024
	v_add_co_u32 v4, vcc_lo, 0x1800, v11
	v_mov_b32_e32 v3, 0x40260000
	v_add_co_ci_u32_e64 v5, null, 0, v12, vcc_lo
	v_mov_b32_e32 v9, 0x40280000
	v_mov_b32_e32 v11, 0x402a0000
	;; [unrolled: 1-line block ×7, first 2 shown]
	global_store_dwordx2 v[6:7], v[2:3], off offset:1536
	global_store_dwordx2 v[4:5], v[8:9], off
	global_store_dwordx2 v[4:5], v[10:11], off offset:512
	global_store_dwordx2 v[4:5], v[12:13], off offset:1024
	;; [unrolled: 1-line block ×3, first 2 shown]
	s_endpgm
	.section	.rodata,"a",@progbits
	.p2align	6, 0x0
	.amdhsa_kernel _Z17warp_store_kernelILj256ELj16ELj64ELN6hipcub18WarpStoreAlgorithmE1EdEvPT3_
		.amdhsa_group_segment_fixed_size 0
		.amdhsa_private_segment_fixed_size 0
		.amdhsa_kernarg_size 8
		.amdhsa_user_sgpr_count 6
		.amdhsa_user_sgpr_private_segment_buffer 1
		.amdhsa_user_sgpr_dispatch_ptr 0
		.amdhsa_user_sgpr_queue_ptr 0
		.amdhsa_user_sgpr_kernarg_segment_ptr 1
		.amdhsa_user_sgpr_dispatch_id 0
		.amdhsa_user_sgpr_flat_scratch_init 0
		.amdhsa_user_sgpr_private_segment_size 0
		.amdhsa_wavefront_size32 1
		.amdhsa_uses_dynamic_stack 0
		.amdhsa_system_sgpr_private_segment_wavefront_offset 0
		.amdhsa_system_sgpr_workgroup_id_x 1
		.amdhsa_system_sgpr_workgroup_id_y 0
		.amdhsa_system_sgpr_workgroup_id_z 0
		.amdhsa_system_sgpr_workgroup_info 0
		.amdhsa_system_vgpr_workitem_id 0
		.amdhsa_next_free_vgpr 21
		.amdhsa_next_free_sgpr 7
		.amdhsa_reserve_vcc 1
		.amdhsa_reserve_flat_scratch 0
		.amdhsa_float_round_mode_32 0
		.amdhsa_float_round_mode_16_64 0
		.amdhsa_float_denorm_mode_32 3
		.amdhsa_float_denorm_mode_16_64 3
		.amdhsa_dx10_clamp 1
		.amdhsa_ieee_mode 1
		.amdhsa_fp16_overflow 0
		.amdhsa_workgroup_processor_mode 1
		.amdhsa_memory_ordered 1
		.amdhsa_forward_progress 1
		.amdhsa_shared_vgpr_count 0
		.amdhsa_exception_fp_ieee_invalid_op 0
		.amdhsa_exception_fp_denorm_src 0
		.amdhsa_exception_fp_ieee_div_zero 0
		.amdhsa_exception_fp_ieee_overflow 0
		.amdhsa_exception_fp_ieee_underflow 0
		.amdhsa_exception_fp_ieee_inexact 0
		.amdhsa_exception_int_div_zero 0
	.end_amdhsa_kernel
	.section	.text._Z17warp_store_kernelILj256ELj16ELj64ELN6hipcub18WarpStoreAlgorithmE1EdEvPT3_,"axG",@progbits,_Z17warp_store_kernelILj256ELj16ELj64ELN6hipcub18WarpStoreAlgorithmE1EdEvPT3_,comdat
.Lfunc_end65:
	.size	_Z17warp_store_kernelILj256ELj16ELj64ELN6hipcub18WarpStoreAlgorithmE1EdEvPT3_, .Lfunc_end65-_Z17warp_store_kernelILj256ELj16ELj64ELN6hipcub18WarpStoreAlgorithmE1EdEvPT3_
                                        ; -- End function
	.set _Z17warp_store_kernelILj256ELj16ELj64ELN6hipcub18WarpStoreAlgorithmE1EdEvPT3_.num_vgpr, 21
	.set _Z17warp_store_kernelILj256ELj16ELj64ELN6hipcub18WarpStoreAlgorithmE1EdEvPT3_.num_agpr, 0
	.set _Z17warp_store_kernelILj256ELj16ELj64ELN6hipcub18WarpStoreAlgorithmE1EdEvPT3_.numbered_sgpr, 7
	.set _Z17warp_store_kernelILj256ELj16ELj64ELN6hipcub18WarpStoreAlgorithmE1EdEvPT3_.num_named_barrier, 0
	.set _Z17warp_store_kernelILj256ELj16ELj64ELN6hipcub18WarpStoreAlgorithmE1EdEvPT3_.private_seg_size, 0
	.set _Z17warp_store_kernelILj256ELj16ELj64ELN6hipcub18WarpStoreAlgorithmE1EdEvPT3_.uses_vcc, 1
	.set _Z17warp_store_kernelILj256ELj16ELj64ELN6hipcub18WarpStoreAlgorithmE1EdEvPT3_.uses_flat_scratch, 0
	.set _Z17warp_store_kernelILj256ELj16ELj64ELN6hipcub18WarpStoreAlgorithmE1EdEvPT3_.has_dyn_sized_stack, 0
	.set _Z17warp_store_kernelILj256ELj16ELj64ELN6hipcub18WarpStoreAlgorithmE1EdEvPT3_.has_recursion, 0
	.set _Z17warp_store_kernelILj256ELj16ELj64ELN6hipcub18WarpStoreAlgorithmE1EdEvPT3_.has_indirect_call, 0
	.section	.AMDGPU.csdata,"",@progbits
; Kernel info:
; codeLenInByte = 464
; TotalNumSgprs: 9
; NumVgprs: 21
; ScratchSize: 0
; MemoryBound: 1
; FloatMode: 240
; IeeeMode: 1
; LDSByteSize: 0 bytes/workgroup (compile time only)
; SGPRBlocks: 0
; VGPRBlocks: 2
; NumSGPRsForWavesPerEU: 9
; NumVGPRsForWavesPerEU: 21
; Occupancy: 16
; WaveLimiterHint : 1
; COMPUTE_PGM_RSRC2:SCRATCH_EN: 0
; COMPUTE_PGM_RSRC2:USER_SGPR: 6
; COMPUTE_PGM_RSRC2:TRAP_HANDLER: 0
; COMPUTE_PGM_RSRC2:TGID_X_EN: 1
; COMPUTE_PGM_RSRC2:TGID_Y_EN: 0
; COMPUTE_PGM_RSRC2:TGID_Z_EN: 0
; COMPUTE_PGM_RSRC2:TIDIG_COMP_CNT: 0
	.section	.text._Z17warp_store_kernelILj256ELj16ELj64ELN6hipcub18WarpStoreAlgorithmE2EdEvPT3_,"axG",@progbits,_Z17warp_store_kernelILj256ELj16ELj64ELN6hipcub18WarpStoreAlgorithmE2EdEvPT3_,comdat
	.protected	_Z17warp_store_kernelILj256ELj16ELj64ELN6hipcub18WarpStoreAlgorithmE2EdEvPT3_ ; -- Begin function _Z17warp_store_kernelILj256ELj16ELj64ELN6hipcub18WarpStoreAlgorithmE2EdEvPT3_
	.globl	_Z17warp_store_kernelILj256ELj16ELj64ELN6hipcub18WarpStoreAlgorithmE2EdEvPT3_
	.p2align	8
	.type	_Z17warp_store_kernelILj256ELj16ELj64ELN6hipcub18WarpStoreAlgorithmE2EdEvPT3_,@function
_Z17warp_store_kernelILj256ELj16ELj64ELN6hipcub18WarpStoreAlgorithmE2EdEvPT3_: ; @_Z17warp_store_kernelILj256ELj16ELj64ELN6hipcub18WarpStoreAlgorithmE2EdEvPT3_
; %bb.0:
	s_load_dwordx2 s[0:1], s[4:5], 0x0
	v_lshlrev_b32_e32 v0, 4, v0
	s_lshl_b32 s2, s6, 12
	v_mov_b32_e32 v1, 0
	v_mbcnt_lo_u32_b32 v2, -1, 0
	v_mov_b32_e32 v3, 0x3ff00000
	v_and_or_b32 v0, 0xc00, v0, s2
	v_mov_b32_e32 v5, 2.0
	v_mov_b32_e32 v7, 0x40080000
	v_lshlrev_b32_e32 v8, 7, v2
	v_mov_b32_e32 v2, v1
	v_lshlrev_b64 v[12:13], 3, v[0:1]
	v_mov_b32_e32 v0, v1
	v_mov_b32_e32 v4, v1
	;; [unrolled: 1-line block ×8, first 2 shown]
	s_waitcnt lgkmcnt(0)
	v_add_co_u32 v10, vcc_lo, s0, v12
	v_add_co_ci_u32_e64 v12, null, s1, v13, vcc_lo
	v_mov_b32_e32 v13, 0x40260000
	v_add_co_u32 v22, vcc_lo, v10, v8
	v_add_co_ci_u32_e64 v23, null, 0, v12, vcc_lo
	v_mov_b32_e32 v8, v1
	v_mov_b32_e32 v10, v1
	;; [unrolled: 1-line block ×3, first 2 shown]
	global_store_dwordx4 v[22:23], v[0:3], off
	global_store_dwordx4 v[22:23], v[4:7], off offset:16
	global_store_dwordx4 v[22:23], v[8:11], off offset:32
	v_mov_b32_e32 v3, 0x40180000
	v_mov_b32_e32 v5, 0x401c0000
	;; [unrolled: 1-line block ×10, first 2 shown]
	global_store_dwordx4 v[22:23], v[2:5], off offset:48
	global_store_dwordx4 v[22:23], v[6:9], off offset:64
	;; [unrolled: 1-line block ×5, first 2 shown]
	s_endpgm
	.section	.rodata,"a",@progbits
	.p2align	6, 0x0
	.amdhsa_kernel _Z17warp_store_kernelILj256ELj16ELj64ELN6hipcub18WarpStoreAlgorithmE2EdEvPT3_
		.amdhsa_group_segment_fixed_size 0
		.amdhsa_private_segment_fixed_size 0
		.amdhsa_kernarg_size 8
		.amdhsa_user_sgpr_count 6
		.amdhsa_user_sgpr_private_segment_buffer 1
		.amdhsa_user_sgpr_dispatch_ptr 0
		.amdhsa_user_sgpr_queue_ptr 0
		.amdhsa_user_sgpr_kernarg_segment_ptr 1
		.amdhsa_user_sgpr_dispatch_id 0
		.amdhsa_user_sgpr_flat_scratch_init 0
		.amdhsa_user_sgpr_private_segment_size 0
		.amdhsa_wavefront_size32 1
		.amdhsa_uses_dynamic_stack 0
		.amdhsa_system_sgpr_private_segment_wavefront_offset 0
		.amdhsa_system_sgpr_workgroup_id_x 1
		.amdhsa_system_sgpr_workgroup_id_y 0
		.amdhsa_system_sgpr_workgroup_id_z 0
		.amdhsa_system_sgpr_workgroup_info 0
		.amdhsa_system_vgpr_workitem_id 0
		.amdhsa_next_free_vgpr 24
		.amdhsa_next_free_sgpr 7
		.amdhsa_reserve_vcc 1
		.amdhsa_reserve_flat_scratch 0
		.amdhsa_float_round_mode_32 0
		.amdhsa_float_round_mode_16_64 0
		.amdhsa_float_denorm_mode_32 3
		.amdhsa_float_denorm_mode_16_64 3
		.amdhsa_dx10_clamp 1
		.amdhsa_ieee_mode 1
		.amdhsa_fp16_overflow 0
		.amdhsa_workgroup_processor_mode 1
		.amdhsa_memory_ordered 1
		.amdhsa_forward_progress 1
		.amdhsa_shared_vgpr_count 0
		.amdhsa_exception_fp_ieee_invalid_op 0
		.amdhsa_exception_fp_denorm_src 0
		.amdhsa_exception_fp_ieee_div_zero 0
		.amdhsa_exception_fp_ieee_overflow 0
		.amdhsa_exception_fp_ieee_underflow 0
		.amdhsa_exception_fp_ieee_inexact 0
		.amdhsa_exception_int_div_zero 0
	.end_amdhsa_kernel
	.section	.text._Z17warp_store_kernelILj256ELj16ELj64ELN6hipcub18WarpStoreAlgorithmE2EdEvPT3_,"axG",@progbits,_Z17warp_store_kernelILj256ELj16ELj64ELN6hipcub18WarpStoreAlgorithmE2EdEvPT3_,comdat
.Lfunc_end66:
	.size	_Z17warp_store_kernelILj256ELj16ELj64ELN6hipcub18WarpStoreAlgorithmE2EdEvPT3_, .Lfunc_end66-_Z17warp_store_kernelILj256ELj16ELj64ELN6hipcub18WarpStoreAlgorithmE2EdEvPT3_
                                        ; -- End function
	.set _Z17warp_store_kernelILj256ELj16ELj64ELN6hipcub18WarpStoreAlgorithmE2EdEvPT3_.num_vgpr, 24
	.set _Z17warp_store_kernelILj256ELj16ELj64ELN6hipcub18WarpStoreAlgorithmE2EdEvPT3_.num_agpr, 0
	.set _Z17warp_store_kernelILj256ELj16ELj64ELN6hipcub18WarpStoreAlgorithmE2EdEvPT3_.numbered_sgpr, 7
	.set _Z17warp_store_kernelILj256ELj16ELj64ELN6hipcub18WarpStoreAlgorithmE2EdEvPT3_.num_named_barrier, 0
	.set _Z17warp_store_kernelILj256ELj16ELj64ELN6hipcub18WarpStoreAlgorithmE2EdEvPT3_.private_seg_size, 0
	.set _Z17warp_store_kernelILj256ELj16ELj64ELN6hipcub18WarpStoreAlgorithmE2EdEvPT3_.uses_vcc, 1
	.set _Z17warp_store_kernelILj256ELj16ELj64ELN6hipcub18WarpStoreAlgorithmE2EdEvPT3_.uses_flat_scratch, 0
	.set _Z17warp_store_kernelILj256ELj16ELj64ELN6hipcub18WarpStoreAlgorithmE2EdEvPT3_.has_dyn_sized_stack, 0
	.set _Z17warp_store_kernelILj256ELj16ELj64ELN6hipcub18WarpStoreAlgorithmE2EdEvPT3_.has_recursion, 0
	.set _Z17warp_store_kernelILj256ELj16ELj64ELN6hipcub18WarpStoreAlgorithmE2EdEvPT3_.has_indirect_call, 0
	.section	.AMDGPU.csdata,"",@progbits
; Kernel info:
; codeLenInByte = 316
; TotalNumSgprs: 9
; NumVgprs: 24
; ScratchSize: 0
; MemoryBound: 1
; FloatMode: 240
; IeeeMode: 1
; LDSByteSize: 0 bytes/workgroup (compile time only)
; SGPRBlocks: 0
; VGPRBlocks: 2
; NumSGPRsForWavesPerEU: 9
; NumVGPRsForWavesPerEU: 24
; Occupancy: 16
; WaveLimiterHint : 1
; COMPUTE_PGM_RSRC2:SCRATCH_EN: 0
; COMPUTE_PGM_RSRC2:USER_SGPR: 6
; COMPUTE_PGM_RSRC2:TRAP_HANDLER: 0
; COMPUTE_PGM_RSRC2:TGID_X_EN: 1
; COMPUTE_PGM_RSRC2:TGID_Y_EN: 0
; COMPUTE_PGM_RSRC2:TGID_Z_EN: 0
; COMPUTE_PGM_RSRC2:TIDIG_COMP_CNT: 0
	.section	.text._Z17warp_store_kernelILj256ELj32ELj64ELN6hipcub18WarpStoreAlgorithmE0EdEvPT3_,"axG",@progbits,_Z17warp_store_kernelILj256ELj32ELj64ELN6hipcub18WarpStoreAlgorithmE0EdEvPT3_,comdat
	.protected	_Z17warp_store_kernelILj256ELj32ELj64ELN6hipcub18WarpStoreAlgorithmE0EdEvPT3_ ; -- Begin function _Z17warp_store_kernelILj256ELj32ELj64ELN6hipcub18WarpStoreAlgorithmE0EdEvPT3_
	.globl	_Z17warp_store_kernelILj256ELj32ELj64ELN6hipcub18WarpStoreAlgorithmE0EdEvPT3_
	.p2align	8
	.type	_Z17warp_store_kernelILj256ELj32ELj64ELN6hipcub18WarpStoreAlgorithmE0EdEvPT3_,@function
_Z17warp_store_kernelILj256ELj32ELj64ELN6hipcub18WarpStoreAlgorithmE0EdEvPT3_: ; @_Z17warp_store_kernelILj256ELj32ELj64ELN6hipcub18WarpStoreAlgorithmE0EdEvPT3_
; %bb.0:
	s_load_dwordx2 s[0:1], s[4:5], 0x0
	v_lshlrev_b32_e32 v0, 5, v0
	s_lshl_b32 s2, s6, 13
	v_mov_b32_e32 v1, 0
	v_mbcnt_lo_u32_b32 v2, -1, 0
	v_mov_b32_e32 v3, 0x3ff00000
	v_and_or_b32 v0, 0x1800, v0, s2
	v_mov_b32_e32 v5, 2.0
	v_mov_b32_e32 v7, 0x40080000
	v_lshlrev_b32_e32 v4, 8, v2
	v_mov_b32_e32 v2, v1
	v_lshlrev_b64 v[16:17], 3, v[0:1]
	v_mov_b32_e32 v0, v1
	v_mov_b32_e32 v9, 0x40100000
	;; [unrolled: 1-line block ×8, first 2 shown]
	s_waitcnt lgkmcnt(0)
	v_add_co_u32 v6, vcc_lo, s0, v16
	v_add_co_ci_u32_e64 v8, null, s1, v17, vcc_lo
	v_mov_b32_e32 v17, 0x40200000
	v_add_co_u32 v24, vcc_lo, v6, v4
	v_add_co_ci_u32_e64 v25, null, 0, v8, vcc_lo
	v_mov_b32_e32 v4, v1
	v_mov_b32_e32 v6, v1
	;; [unrolled: 1-line block ×10, first 2 shown]
	global_store_dwordx4 v[24:25], v[0:3], off
	global_store_dwordx4 v[24:25], v[4:7], off offset:16
	global_store_dwordx4 v[24:25], v[8:11], off offset:32
	;; [unrolled: 1-line block ×5, first 2 shown]
	v_mov_b32_e32 v3, 0x40280000
	v_mov_b32_e32 v5, 0x402a0000
	;; [unrolled: 1-line block ×10, first 2 shown]
	global_store_dwordx4 v[24:25], v[2:5], off offset:96
	global_store_dwordx4 v[24:25], v[6:9], off offset:112
	;; [unrolled: 1-line block ×5, first 2 shown]
	v_mov_b32_e32 v3, 0x40360000
	v_mov_b32_e32 v5, 0x40370000
	;; [unrolled: 1-line block ×10, first 2 shown]
	global_store_dwordx4 v[24:25], v[2:5], off offset:176
	global_store_dwordx4 v[24:25], v[6:9], off offset:192
	global_store_dwordx4 v[24:25], v[10:13], off offset:208
	global_store_dwordx4 v[24:25], v[14:17], off offset:224
	global_store_dwordx4 v[24:25], v[18:21], off offset:240
	s_endpgm
	.section	.rodata,"a",@progbits
	.p2align	6, 0x0
	.amdhsa_kernel _Z17warp_store_kernelILj256ELj32ELj64ELN6hipcub18WarpStoreAlgorithmE0EdEvPT3_
		.amdhsa_group_segment_fixed_size 0
		.amdhsa_private_segment_fixed_size 0
		.amdhsa_kernarg_size 8
		.amdhsa_user_sgpr_count 6
		.amdhsa_user_sgpr_private_segment_buffer 1
		.amdhsa_user_sgpr_dispatch_ptr 0
		.amdhsa_user_sgpr_queue_ptr 0
		.amdhsa_user_sgpr_kernarg_segment_ptr 1
		.amdhsa_user_sgpr_dispatch_id 0
		.amdhsa_user_sgpr_flat_scratch_init 0
		.amdhsa_user_sgpr_private_segment_size 0
		.amdhsa_wavefront_size32 1
		.amdhsa_uses_dynamic_stack 0
		.amdhsa_system_sgpr_private_segment_wavefront_offset 0
		.amdhsa_system_sgpr_workgroup_id_x 1
		.amdhsa_system_sgpr_workgroup_id_y 0
		.amdhsa_system_sgpr_workgroup_id_z 0
		.amdhsa_system_sgpr_workgroup_info 0
		.amdhsa_system_vgpr_workitem_id 0
		.amdhsa_next_free_vgpr 26
		.amdhsa_next_free_sgpr 7
		.amdhsa_reserve_vcc 1
		.amdhsa_reserve_flat_scratch 0
		.amdhsa_float_round_mode_32 0
		.amdhsa_float_round_mode_16_64 0
		.amdhsa_float_denorm_mode_32 3
		.amdhsa_float_denorm_mode_16_64 3
		.amdhsa_dx10_clamp 1
		.amdhsa_ieee_mode 1
		.amdhsa_fp16_overflow 0
		.amdhsa_workgroup_processor_mode 1
		.amdhsa_memory_ordered 1
		.amdhsa_forward_progress 1
		.amdhsa_shared_vgpr_count 0
		.amdhsa_exception_fp_ieee_invalid_op 0
		.amdhsa_exception_fp_denorm_src 0
		.amdhsa_exception_fp_ieee_div_zero 0
		.amdhsa_exception_fp_ieee_overflow 0
		.amdhsa_exception_fp_ieee_underflow 0
		.amdhsa_exception_fp_ieee_inexact 0
		.amdhsa_exception_int_div_zero 0
	.end_amdhsa_kernel
	.section	.text._Z17warp_store_kernelILj256ELj32ELj64ELN6hipcub18WarpStoreAlgorithmE0EdEvPT3_,"axG",@progbits,_Z17warp_store_kernelILj256ELj32ELj64ELN6hipcub18WarpStoreAlgorithmE0EdEvPT3_,comdat
.Lfunc_end67:
	.size	_Z17warp_store_kernelILj256ELj32ELj64ELN6hipcub18WarpStoreAlgorithmE0EdEvPT3_, .Lfunc_end67-_Z17warp_store_kernelILj256ELj32ELj64ELN6hipcub18WarpStoreAlgorithmE0EdEvPT3_
                                        ; -- End function
	.set _Z17warp_store_kernelILj256ELj32ELj64ELN6hipcub18WarpStoreAlgorithmE0EdEvPT3_.num_vgpr, 26
	.set _Z17warp_store_kernelILj256ELj32ELj64ELN6hipcub18WarpStoreAlgorithmE0EdEvPT3_.num_agpr, 0
	.set _Z17warp_store_kernelILj256ELj32ELj64ELN6hipcub18WarpStoreAlgorithmE0EdEvPT3_.numbered_sgpr, 7
	.set _Z17warp_store_kernelILj256ELj32ELj64ELN6hipcub18WarpStoreAlgorithmE0EdEvPT3_.num_named_barrier, 0
	.set _Z17warp_store_kernelILj256ELj32ELj64ELN6hipcub18WarpStoreAlgorithmE0EdEvPT3_.private_seg_size, 0
	.set _Z17warp_store_kernelILj256ELj32ELj64ELN6hipcub18WarpStoreAlgorithmE0EdEvPT3_.uses_vcc, 1
	.set _Z17warp_store_kernelILj256ELj32ELj64ELN6hipcub18WarpStoreAlgorithmE0EdEvPT3_.uses_flat_scratch, 0
	.set _Z17warp_store_kernelILj256ELj32ELj64ELN6hipcub18WarpStoreAlgorithmE0EdEvPT3_.has_dyn_sized_stack, 0
	.set _Z17warp_store_kernelILj256ELj32ELj64ELN6hipcub18WarpStoreAlgorithmE0EdEvPT3_.has_recursion, 0
	.set _Z17warp_store_kernelILj256ELj32ELj64ELN6hipcub18WarpStoreAlgorithmE0EdEvPT3_.has_indirect_call, 0
	.section	.AMDGPU.csdata,"",@progbits
; Kernel info:
; codeLenInByte = 512
; TotalNumSgprs: 9
; NumVgprs: 26
; ScratchSize: 0
; MemoryBound: 1
; FloatMode: 240
; IeeeMode: 1
; LDSByteSize: 0 bytes/workgroup (compile time only)
; SGPRBlocks: 0
; VGPRBlocks: 3
; NumSGPRsForWavesPerEU: 9
; NumVGPRsForWavesPerEU: 26
; Occupancy: 16
; WaveLimiterHint : 1
; COMPUTE_PGM_RSRC2:SCRATCH_EN: 0
; COMPUTE_PGM_RSRC2:USER_SGPR: 6
; COMPUTE_PGM_RSRC2:TRAP_HANDLER: 0
; COMPUTE_PGM_RSRC2:TGID_X_EN: 1
; COMPUTE_PGM_RSRC2:TGID_Y_EN: 0
; COMPUTE_PGM_RSRC2:TGID_Z_EN: 0
; COMPUTE_PGM_RSRC2:TIDIG_COMP_CNT: 0
	.section	.text._Z17warp_store_kernelILj256ELj32ELj64ELN6hipcub18WarpStoreAlgorithmE1EdEvPT3_,"axG",@progbits,_Z17warp_store_kernelILj256ELj32ELj64ELN6hipcub18WarpStoreAlgorithmE1EdEvPT3_,comdat
	.protected	_Z17warp_store_kernelILj256ELj32ELj64ELN6hipcub18WarpStoreAlgorithmE1EdEvPT3_ ; -- Begin function _Z17warp_store_kernelILj256ELj32ELj64ELN6hipcub18WarpStoreAlgorithmE1EdEvPT3_
	.globl	_Z17warp_store_kernelILj256ELj32ELj64ELN6hipcub18WarpStoreAlgorithmE1EdEvPT3_
	.p2align	8
	.type	_Z17warp_store_kernelILj256ELj32ELj64ELN6hipcub18WarpStoreAlgorithmE1EdEvPT3_,@function
_Z17warp_store_kernelILj256ELj32ELj64ELN6hipcub18WarpStoreAlgorithmE1EdEvPT3_: ; @_Z17warp_store_kernelILj256ELj32ELj64ELN6hipcub18WarpStoreAlgorithmE1EdEvPT3_
; %bb.0:
	s_load_dwordx2 s[0:1], s[4:5], 0x0
	v_lshlrev_b32_e32 v0, 5, v0
	s_lshl_b32 s2, s6, 13
	v_mov_b32_e32 v1, 0
	v_mbcnt_lo_u32_b32 v2, -1, 0
	v_mov_b32_e32 v3, 0x3ff00000
	v_and_or_b32 v0, 0x1800, v0, s2
	v_mov_b32_e32 v6, 2.0
	v_mov_b32_e32 v8, 0x40080000
	v_lshlrev_b32_e32 v2, 3, v2
	v_mov_b32_e32 v7, v1
	v_lshlrev_b64 v[4:5], 3, v[0:1]
	v_mov_b32_e32 v0, v1
	v_mov_b32_e32 v10, 0x40100000
	;; [unrolled: 1-line block ×7, first 2 shown]
	s_waitcnt lgkmcnt(0)
	v_add_co_u32 v4, vcc_lo, s0, v4
	v_add_co_ci_u32_e64 v5, null, s1, v5, vcc_lo
	v_add_co_u32 v11, vcc_lo, v4, v2
	v_add_co_ci_u32_e64 v12, null, 0, v5, vcc_lo
	v_mov_b32_e32 v2, v1
	v_add_co_u32 v13, vcc_lo, 0x800, v11
	v_mov_b32_e32 v5, v1
	v_add_co_ci_u32_e64 v14, null, 0, v12, vcc_lo
	v_add_co_u32 v15, vcc_lo, v11, 0x1000
	v_add_co_ci_u32_e64 v16, null, 0, v12, vcc_lo
	global_store_dwordx2 v[11:12], v[0:1], off
	global_store_dwordx2 v[11:12], v[2:3], off offset:512
	global_store_dwordx2 v[11:12], v[5:6], off offset:1024
	;; [unrolled: 1-line block ×3, first 2 shown]
	global_store_dwordx2 v[15:16], v[9:10], off offset:-2048
	global_store_dwordx2 v[13:14], v[17:18], off offset:512
	v_mov_b32_e32 v3, 0x40180000
	v_mov_b32_e32 v5, 0x401c0000
	;; [unrolled: 1-line block ×3, first 2 shown]
	v_add_co_u32 v6, vcc_lo, 0x1000, v11
	v_mov_b32_e32 v9, 0x40200000
	v_mov_b32_e32 v8, v1
	v_add_co_ci_u32_e64 v7, null, 0, v12, vcc_lo
	v_mov_b32_e32 v18, 0x40220000
	global_store_dwordx2 v[13:14], v[2:3], off offset:1024
	global_store_dwordx2 v[13:14], v[4:5], off offset:1536
	global_store_dwordx2 v[15:16], v[8:9], off
	global_store_dwordx2 v[6:7], v[17:18], off offset:512
	global_store_dwordx2 v[6:7], v[19:20], off offset:1024
	v_add_co_u32 v4, vcc_lo, 0x1800, v11
	v_add_co_ci_u32_e64 v5, null, 0, v12, vcc_lo
	v_add_co_u32 v13, vcc_lo, v11, 0x2000
	v_mov_b32_e32 v3, 0x40260000
	v_mov_b32_e32 v9, 0x40280000
	v_add_co_ci_u32_e64 v14, null, 0, v12, vcc_lo
	v_mov_b32_e32 v16, 0x402a0000
	v_mov_b32_e32 v15, v1
	;; [unrolled: 1-line block ×4, first 2 shown]
	global_store_dwordx2 v[6:7], v[2:3], off offset:1536
	global_store_dwordx2 v[13:14], v[8:9], off offset:-2048
	global_store_dwordx2 v[4:5], v[15:16], off offset:512
	global_store_dwordx2 v[4:5], v[17:18], off offset:1024
	;; [unrolled: 1-line block ×3, first 2 shown]
	v_mov_b32_e32 v3, 0x40300000
	v_add_co_u32 v4, vcc_lo, 0x2000, v11
	v_add_co_ci_u32_e64 v5, null, 0, v12, vcc_lo
	global_store_dwordx2 v[13:14], v[2:3], off
	v_add_co_u32 v13, vcc_lo, 0x2800, v11
	v_mov_b32_e32 v3, 0x40310000
	v_mov_b32_e32 v7, 0x40320000
	;; [unrolled: 1-line block ×3, first 2 shown]
	v_add_co_ci_u32_e64 v14, null, 0, v12, vcc_lo
	v_add_co_u32 v17, vcc_lo, v11, 0x3000
	v_mov_b32_e32 v9, 0x40330000
	v_mov_b32_e32 v16, 0x40340000
	v_add_co_ci_u32_e64 v18, null, 0, v12, vcc_lo
	v_mov_b32_e32 v20, 0x40350000
	global_store_dwordx2 v[4:5], v[2:3], off offset:512
	global_store_dwordx2 v[4:5], v[6:7], off offset:1024
	;; [unrolled: 1-line block ×3, first 2 shown]
	global_store_dwordx2 v[17:18], v[15:16], off offset:-2048
	global_store_dwordx2 v[13:14], v[19:20], off offset:512
	v_mov_b32_e32 v3, 0x40360000
	v_mov_b32_e32 v5, 0x40370000
	;; [unrolled: 1-line block ×3, first 2 shown]
	v_add_co_u32 v6, vcc_lo, 0x3000, v11
	v_mov_b32_e32 v9, 0x40380000
	v_add_co_ci_u32_e64 v7, null, 0, v12, vcc_lo
	v_mov_b32_e32 v16, 0x40390000
	v_mov_b32_e32 v20, 0x403a0000
	global_store_dwordx2 v[13:14], v[2:3], off offset:1024
	global_store_dwordx2 v[13:14], v[4:5], off offset:1536
	global_store_dwordx2 v[17:18], v[8:9], off
	global_store_dwordx2 v[6:7], v[15:16], off offset:512
	global_store_dwordx2 v[6:7], v[19:20], off offset:1024
	v_add_co_u32 v4, vcc_lo, 0x3800, v11
	v_mov_b32_e32 v3, 0x403b0000
	v_add_co_ci_u32_e64 v5, null, 0, v12, vcc_lo
	v_mov_b32_e32 v9, 0x403c0000
	v_mov_b32_e32 v11, 0x403d0000
	;; [unrolled: 1-line block ×7, first 2 shown]
	global_store_dwordx2 v[6:7], v[2:3], off offset:1536
	global_store_dwordx2 v[4:5], v[8:9], off
	global_store_dwordx2 v[4:5], v[10:11], off offset:512
	global_store_dwordx2 v[4:5], v[12:13], off offset:1024
	;; [unrolled: 1-line block ×3, first 2 shown]
	s_endpgm
	.section	.rodata,"a",@progbits
	.p2align	6, 0x0
	.amdhsa_kernel _Z17warp_store_kernelILj256ELj32ELj64ELN6hipcub18WarpStoreAlgorithmE1EdEvPT3_
		.amdhsa_group_segment_fixed_size 0
		.amdhsa_private_segment_fixed_size 0
		.amdhsa_kernarg_size 8
		.amdhsa_user_sgpr_count 6
		.amdhsa_user_sgpr_private_segment_buffer 1
		.amdhsa_user_sgpr_dispatch_ptr 0
		.amdhsa_user_sgpr_queue_ptr 0
		.amdhsa_user_sgpr_kernarg_segment_ptr 1
		.amdhsa_user_sgpr_dispatch_id 0
		.amdhsa_user_sgpr_flat_scratch_init 0
		.amdhsa_user_sgpr_private_segment_size 0
		.amdhsa_wavefront_size32 1
		.amdhsa_uses_dynamic_stack 0
		.amdhsa_system_sgpr_private_segment_wavefront_offset 0
		.amdhsa_system_sgpr_workgroup_id_x 1
		.amdhsa_system_sgpr_workgroup_id_y 0
		.amdhsa_system_sgpr_workgroup_id_z 0
		.amdhsa_system_sgpr_workgroup_info 0
		.amdhsa_system_vgpr_workitem_id 0
		.amdhsa_next_free_vgpr 21
		.amdhsa_next_free_sgpr 7
		.amdhsa_reserve_vcc 1
		.amdhsa_reserve_flat_scratch 0
		.amdhsa_float_round_mode_32 0
		.amdhsa_float_round_mode_16_64 0
		.amdhsa_float_denorm_mode_32 3
		.amdhsa_float_denorm_mode_16_64 3
		.amdhsa_dx10_clamp 1
		.amdhsa_ieee_mode 1
		.amdhsa_fp16_overflow 0
		.amdhsa_workgroup_processor_mode 1
		.amdhsa_memory_ordered 1
		.amdhsa_forward_progress 1
		.amdhsa_shared_vgpr_count 0
		.amdhsa_exception_fp_ieee_invalid_op 0
		.amdhsa_exception_fp_denorm_src 0
		.amdhsa_exception_fp_ieee_div_zero 0
		.amdhsa_exception_fp_ieee_overflow 0
		.amdhsa_exception_fp_ieee_underflow 0
		.amdhsa_exception_fp_ieee_inexact 0
		.amdhsa_exception_int_div_zero 0
	.end_amdhsa_kernel
	.section	.text._Z17warp_store_kernelILj256ELj32ELj64ELN6hipcub18WarpStoreAlgorithmE1EdEvPT3_,"axG",@progbits,_Z17warp_store_kernelILj256ELj32ELj64ELN6hipcub18WarpStoreAlgorithmE1EdEvPT3_,comdat
.Lfunc_end68:
	.size	_Z17warp_store_kernelILj256ELj32ELj64ELN6hipcub18WarpStoreAlgorithmE1EdEvPT3_, .Lfunc_end68-_Z17warp_store_kernelILj256ELj32ELj64ELN6hipcub18WarpStoreAlgorithmE1EdEvPT3_
                                        ; -- End function
	.set _Z17warp_store_kernelILj256ELj32ELj64ELN6hipcub18WarpStoreAlgorithmE1EdEvPT3_.num_vgpr, 21
	.set _Z17warp_store_kernelILj256ELj32ELj64ELN6hipcub18WarpStoreAlgorithmE1EdEvPT3_.num_agpr, 0
	.set _Z17warp_store_kernelILj256ELj32ELj64ELN6hipcub18WarpStoreAlgorithmE1EdEvPT3_.numbered_sgpr, 7
	.set _Z17warp_store_kernelILj256ELj32ELj64ELN6hipcub18WarpStoreAlgorithmE1EdEvPT3_.num_named_barrier, 0
	.set _Z17warp_store_kernelILj256ELj32ELj64ELN6hipcub18WarpStoreAlgorithmE1EdEvPT3_.private_seg_size, 0
	.set _Z17warp_store_kernelILj256ELj32ELj64ELN6hipcub18WarpStoreAlgorithmE1EdEvPT3_.uses_vcc, 1
	.set _Z17warp_store_kernelILj256ELj32ELj64ELN6hipcub18WarpStoreAlgorithmE1EdEvPT3_.uses_flat_scratch, 0
	.set _Z17warp_store_kernelILj256ELj32ELj64ELN6hipcub18WarpStoreAlgorithmE1EdEvPT3_.has_dyn_sized_stack, 0
	.set _Z17warp_store_kernelILj256ELj32ELj64ELN6hipcub18WarpStoreAlgorithmE1EdEvPT3_.has_recursion, 0
	.set _Z17warp_store_kernelILj256ELj32ELj64ELN6hipcub18WarpStoreAlgorithmE1EdEvPT3_.has_indirect_call, 0
	.section	.AMDGPU.csdata,"",@progbits
; Kernel info:
; codeLenInByte = 852
; TotalNumSgprs: 9
; NumVgprs: 21
; ScratchSize: 0
; MemoryBound: 1
; FloatMode: 240
; IeeeMode: 1
; LDSByteSize: 0 bytes/workgroup (compile time only)
; SGPRBlocks: 0
; VGPRBlocks: 2
; NumSGPRsForWavesPerEU: 9
; NumVGPRsForWavesPerEU: 21
; Occupancy: 16
; WaveLimiterHint : 1
; COMPUTE_PGM_RSRC2:SCRATCH_EN: 0
; COMPUTE_PGM_RSRC2:USER_SGPR: 6
; COMPUTE_PGM_RSRC2:TRAP_HANDLER: 0
; COMPUTE_PGM_RSRC2:TGID_X_EN: 1
; COMPUTE_PGM_RSRC2:TGID_Y_EN: 0
; COMPUTE_PGM_RSRC2:TGID_Z_EN: 0
; COMPUTE_PGM_RSRC2:TIDIG_COMP_CNT: 0
	.section	.text._Z17warp_store_kernelILj256ELj32ELj64ELN6hipcub18WarpStoreAlgorithmE2EdEvPT3_,"axG",@progbits,_Z17warp_store_kernelILj256ELj32ELj64ELN6hipcub18WarpStoreAlgorithmE2EdEvPT3_,comdat
	.protected	_Z17warp_store_kernelILj256ELj32ELj64ELN6hipcub18WarpStoreAlgorithmE2EdEvPT3_ ; -- Begin function _Z17warp_store_kernelILj256ELj32ELj64ELN6hipcub18WarpStoreAlgorithmE2EdEvPT3_
	.globl	_Z17warp_store_kernelILj256ELj32ELj64ELN6hipcub18WarpStoreAlgorithmE2EdEvPT3_
	.p2align	8
	.type	_Z17warp_store_kernelILj256ELj32ELj64ELN6hipcub18WarpStoreAlgorithmE2EdEvPT3_,@function
_Z17warp_store_kernelILj256ELj32ELj64ELN6hipcub18WarpStoreAlgorithmE2EdEvPT3_: ; @_Z17warp_store_kernelILj256ELj32ELj64ELN6hipcub18WarpStoreAlgorithmE2EdEvPT3_
; %bb.0:
	s_load_dwordx2 s[0:1], s[4:5], 0x0
	v_lshlrev_b32_e32 v0, 5, v0
	s_lshl_b32 s2, s6, 13
	v_mov_b32_e32 v1, 0
	v_mbcnt_lo_u32_b32 v2, -1, 0
	v_mov_b32_e32 v3, 0x3ff00000
	v_and_or_b32 v0, 0x1800, v0, s2
	v_mov_b32_e32 v5, 2.0
	v_mov_b32_e32 v7, 0x40080000
	v_lshlrev_b32_e32 v4, 8, v2
	v_mov_b32_e32 v2, v1
	v_lshlrev_b64 v[16:17], 3, v[0:1]
	v_mov_b32_e32 v0, v1
	v_mov_b32_e32 v9, 0x40100000
	;; [unrolled: 1-line block ×8, first 2 shown]
	s_waitcnt lgkmcnt(0)
	v_add_co_u32 v6, vcc_lo, s0, v16
	v_add_co_ci_u32_e64 v8, null, s1, v17, vcc_lo
	v_mov_b32_e32 v17, 0x40200000
	v_add_co_u32 v24, vcc_lo, v6, v4
	v_add_co_ci_u32_e64 v25, null, 0, v8, vcc_lo
	v_mov_b32_e32 v4, v1
	v_mov_b32_e32 v6, v1
	v_mov_b32_e32 v8, v1
	v_mov_b32_e32 v19, 0x40220000
	v_mov_b32_e32 v16, v1
	v_mov_b32_e32 v18, v1
	v_mov_b32_e32 v21, 0x40240000
	v_mov_b32_e32 v23, 0x40260000
	v_mov_b32_e32 v20, v1
	v_mov_b32_e32 v22, v1
	global_store_dwordx4 v[24:25], v[0:3], off
	global_store_dwordx4 v[24:25], v[4:7], off offset:16
	global_store_dwordx4 v[24:25], v[8:11], off offset:32
	;; [unrolled: 1-line block ×5, first 2 shown]
	v_mov_b32_e32 v3, 0x40280000
	v_mov_b32_e32 v5, 0x402a0000
	v_mov_b32_e32 v7, 0x402c0000
	v_mov_b32_e32 v9, 0x402e0000
	v_mov_b32_e32 v11, 0x40300000
	v_mov_b32_e32 v13, 0x40310000
	v_mov_b32_e32 v15, 0x40320000
	v_mov_b32_e32 v17, 0x40330000
	v_mov_b32_e32 v19, 0x40340000
	v_mov_b32_e32 v21, 0x40350000
	global_store_dwordx4 v[24:25], v[2:5], off offset:96
	global_store_dwordx4 v[24:25], v[6:9], off offset:112
	;; [unrolled: 1-line block ×5, first 2 shown]
	v_mov_b32_e32 v3, 0x40360000
	v_mov_b32_e32 v5, 0x40370000
	;; [unrolled: 1-line block ×10, first 2 shown]
	global_store_dwordx4 v[24:25], v[2:5], off offset:176
	global_store_dwordx4 v[24:25], v[6:9], off offset:192
	;; [unrolled: 1-line block ×5, first 2 shown]
	s_endpgm
	.section	.rodata,"a",@progbits
	.p2align	6, 0x0
	.amdhsa_kernel _Z17warp_store_kernelILj256ELj32ELj64ELN6hipcub18WarpStoreAlgorithmE2EdEvPT3_
		.amdhsa_group_segment_fixed_size 0
		.amdhsa_private_segment_fixed_size 0
		.amdhsa_kernarg_size 8
		.amdhsa_user_sgpr_count 6
		.amdhsa_user_sgpr_private_segment_buffer 1
		.amdhsa_user_sgpr_dispatch_ptr 0
		.amdhsa_user_sgpr_queue_ptr 0
		.amdhsa_user_sgpr_kernarg_segment_ptr 1
		.amdhsa_user_sgpr_dispatch_id 0
		.amdhsa_user_sgpr_flat_scratch_init 0
		.amdhsa_user_sgpr_private_segment_size 0
		.amdhsa_wavefront_size32 1
		.amdhsa_uses_dynamic_stack 0
		.amdhsa_system_sgpr_private_segment_wavefront_offset 0
		.amdhsa_system_sgpr_workgroup_id_x 1
		.amdhsa_system_sgpr_workgroup_id_y 0
		.amdhsa_system_sgpr_workgroup_id_z 0
		.amdhsa_system_sgpr_workgroup_info 0
		.amdhsa_system_vgpr_workitem_id 0
		.amdhsa_next_free_vgpr 26
		.amdhsa_next_free_sgpr 7
		.amdhsa_reserve_vcc 1
		.amdhsa_reserve_flat_scratch 0
		.amdhsa_float_round_mode_32 0
		.amdhsa_float_round_mode_16_64 0
		.amdhsa_float_denorm_mode_32 3
		.amdhsa_float_denorm_mode_16_64 3
		.amdhsa_dx10_clamp 1
		.amdhsa_ieee_mode 1
		.amdhsa_fp16_overflow 0
		.amdhsa_workgroup_processor_mode 1
		.amdhsa_memory_ordered 1
		.amdhsa_forward_progress 1
		.amdhsa_shared_vgpr_count 0
		.amdhsa_exception_fp_ieee_invalid_op 0
		.amdhsa_exception_fp_denorm_src 0
		.amdhsa_exception_fp_ieee_div_zero 0
		.amdhsa_exception_fp_ieee_overflow 0
		.amdhsa_exception_fp_ieee_underflow 0
		.amdhsa_exception_fp_ieee_inexact 0
		.amdhsa_exception_int_div_zero 0
	.end_amdhsa_kernel
	.section	.text._Z17warp_store_kernelILj256ELj32ELj64ELN6hipcub18WarpStoreAlgorithmE2EdEvPT3_,"axG",@progbits,_Z17warp_store_kernelILj256ELj32ELj64ELN6hipcub18WarpStoreAlgorithmE2EdEvPT3_,comdat
.Lfunc_end69:
	.size	_Z17warp_store_kernelILj256ELj32ELj64ELN6hipcub18WarpStoreAlgorithmE2EdEvPT3_, .Lfunc_end69-_Z17warp_store_kernelILj256ELj32ELj64ELN6hipcub18WarpStoreAlgorithmE2EdEvPT3_
                                        ; -- End function
	.set _Z17warp_store_kernelILj256ELj32ELj64ELN6hipcub18WarpStoreAlgorithmE2EdEvPT3_.num_vgpr, 26
	.set _Z17warp_store_kernelILj256ELj32ELj64ELN6hipcub18WarpStoreAlgorithmE2EdEvPT3_.num_agpr, 0
	.set _Z17warp_store_kernelILj256ELj32ELj64ELN6hipcub18WarpStoreAlgorithmE2EdEvPT3_.numbered_sgpr, 7
	.set _Z17warp_store_kernelILj256ELj32ELj64ELN6hipcub18WarpStoreAlgorithmE2EdEvPT3_.num_named_barrier, 0
	.set _Z17warp_store_kernelILj256ELj32ELj64ELN6hipcub18WarpStoreAlgorithmE2EdEvPT3_.private_seg_size, 0
	.set _Z17warp_store_kernelILj256ELj32ELj64ELN6hipcub18WarpStoreAlgorithmE2EdEvPT3_.uses_vcc, 1
	.set _Z17warp_store_kernelILj256ELj32ELj64ELN6hipcub18WarpStoreAlgorithmE2EdEvPT3_.uses_flat_scratch, 0
	.set _Z17warp_store_kernelILj256ELj32ELj64ELN6hipcub18WarpStoreAlgorithmE2EdEvPT3_.has_dyn_sized_stack, 0
	.set _Z17warp_store_kernelILj256ELj32ELj64ELN6hipcub18WarpStoreAlgorithmE2EdEvPT3_.has_recursion, 0
	.set _Z17warp_store_kernelILj256ELj32ELj64ELN6hipcub18WarpStoreAlgorithmE2EdEvPT3_.has_indirect_call, 0
	.section	.AMDGPU.csdata,"",@progbits
; Kernel info:
; codeLenInByte = 512
; TotalNumSgprs: 9
; NumVgprs: 26
; ScratchSize: 0
; MemoryBound: 1
; FloatMode: 240
; IeeeMode: 1
; LDSByteSize: 0 bytes/workgroup (compile time only)
; SGPRBlocks: 0
; VGPRBlocks: 3
; NumSGPRsForWavesPerEU: 9
; NumVGPRsForWavesPerEU: 26
; Occupancy: 16
; WaveLimiterHint : 1
; COMPUTE_PGM_RSRC2:SCRATCH_EN: 0
; COMPUTE_PGM_RSRC2:USER_SGPR: 6
; COMPUTE_PGM_RSRC2:TRAP_HANDLER: 0
; COMPUTE_PGM_RSRC2:TGID_X_EN: 1
; COMPUTE_PGM_RSRC2:TGID_Y_EN: 0
; COMPUTE_PGM_RSRC2:TGID_Z_EN: 0
; COMPUTE_PGM_RSRC2:TIDIG_COMP_CNT: 0
	.section	.text._Z17warp_store_kernelILj256ELj64ELj64ELN6hipcub18WarpStoreAlgorithmE0EdEvPT3_,"axG",@progbits,_Z17warp_store_kernelILj256ELj64ELj64ELN6hipcub18WarpStoreAlgorithmE0EdEvPT3_,comdat
	.protected	_Z17warp_store_kernelILj256ELj64ELj64ELN6hipcub18WarpStoreAlgorithmE0EdEvPT3_ ; -- Begin function _Z17warp_store_kernelILj256ELj64ELj64ELN6hipcub18WarpStoreAlgorithmE0EdEvPT3_
	.globl	_Z17warp_store_kernelILj256ELj64ELj64ELN6hipcub18WarpStoreAlgorithmE0EdEvPT3_
	.p2align	8
	.type	_Z17warp_store_kernelILj256ELj64ELj64ELN6hipcub18WarpStoreAlgorithmE0EdEvPT3_,@function
_Z17warp_store_kernelILj256ELj64ELj64ELN6hipcub18WarpStoreAlgorithmE0EdEvPT3_: ; @_Z17warp_store_kernelILj256ELj64ELj64ELN6hipcub18WarpStoreAlgorithmE0EdEvPT3_
; %bb.0:
	s_load_dwordx2 s[0:1], s[4:5], 0x0
	v_lshlrev_b32_e32 v0, 6, v0
	s_lshl_b32 s2, s6, 14
	v_mov_b32_e32 v1, 0
	v_mbcnt_lo_u32_b32 v2, -1, 0
	v_mov_b32_e32 v3, 0x3ff00000
	v_and_or_b32 v0, 0x3000, v0, s2
	v_mov_b32_e32 v5, 2.0
	v_mov_b32_e32 v7, 0x40080000
	v_lshlrev_b32_e32 v6, 9, v2
	v_mov_b32_e32 v2, v1
	v_lshlrev_b64 v[12:13], 3, v[0:1]
	v_mov_b32_e32 v0, v1
	v_mov_b32_e32 v4, v1
	;; [unrolled: 1-line block ×8, first 2 shown]
	s_waitcnt lgkmcnt(0)
	v_add_co_u32 v8, vcc_lo, s0, v12
	v_add_co_ci_u32_e64 v10, null, s1, v13, vcc_lo
	v_mov_b32_e32 v13, 0x40180000
	v_add_co_u32 v24, vcc_lo, v8, v6
	v_add_co_ci_u32_e64 v25, null, 0, v10, vcc_lo
	v_mov_b32_e32 v6, v1
	v_mov_b32_e32 v8, v1
	v_mov_b32_e32 v10, v1
	v_mov_b32_e32 v12, v1
	global_store_dwordx4 v[24:25], v[0:3], off
	global_store_dwordx4 v[24:25], v[4:7], off offset:16
	v_mov_b32_e32 v3, 0x40200000
	v_mov_b32_e32 v5, 0x40220000
	v_mov_b32_e32 v16, v1
	v_mov_b32_e32 v18, v1
	v_mov_b32_e32 v21, 0x40280000
	v_mov_b32_e32 v23, 0x402a0000
	v_mov_b32_e32 v20, v1
	v_mov_b32_e32 v22, v1
	global_store_dwordx4 v[24:25], v[8:11], off offset:32
	global_store_dwordx4 v[24:25], v[12:15], off offset:48
	global_store_dwordx4 v[24:25], v[2:5], off offset:64
	global_store_dwordx4 v[24:25], v[16:19], off offset:80
	global_store_dwordx4 v[24:25], v[20:23], off offset:96
	v_mov_b32_e32 v3, 0x402c0000
	v_mov_b32_e32 v5, 0x402e0000
	v_mov_b32_e32 v7, 0x40300000
	v_mov_b32_e32 v9, 0x40310000
	v_mov_b32_e32 v11, 0x40320000
	v_mov_b32_e32 v13, 0x40330000
	v_mov_b32_e32 v15, 0x40340000
	v_mov_b32_e32 v17, 0x40350000
	v_mov_b32_e32 v19, 0x40360000
	v_mov_b32_e32 v21, 0x40370000
	global_store_dwordx4 v[24:25], v[2:5], off offset:112
	global_store_dwordx4 v[24:25], v[6:9], off offset:128
	global_store_dwordx4 v[24:25], v[10:13], off offset:144
	global_store_dwordx4 v[24:25], v[14:17], off offset:160
	global_store_dwordx4 v[24:25], v[18:21], off offset:176
	v_mov_b32_e32 v3, 0x40380000
	v_mov_b32_e32 v5, 0x40390000
	;; [unrolled: 15-line block ×5, first 2 shown]
	v_mov_b32_e32 v7, 0x404c0000
	v_mov_b32_e32 v9, 0x404c8000
	;; [unrolled: 1-line block ×8, first 2 shown]
	global_store_dwordx4 v[24:25], v[2:5], off offset:432
	global_store_dwordx4 v[24:25], v[6:9], off offset:448
	;; [unrolled: 1-line block ×5, first 2 shown]
	s_endpgm
	.section	.rodata,"a",@progbits
	.p2align	6, 0x0
	.amdhsa_kernel _Z17warp_store_kernelILj256ELj64ELj64ELN6hipcub18WarpStoreAlgorithmE0EdEvPT3_
		.amdhsa_group_segment_fixed_size 0
		.amdhsa_private_segment_fixed_size 0
		.amdhsa_kernarg_size 8
		.amdhsa_user_sgpr_count 6
		.amdhsa_user_sgpr_private_segment_buffer 1
		.amdhsa_user_sgpr_dispatch_ptr 0
		.amdhsa_user_sgpr_queue_ptr 0
		.amdhsa_user_sgpr_kernarg_segment_ptr 1
		.amdhsa_user_sgpr_dispatch_id 0
		.amdhsa_user_sgpr_flat_scratch_init 0
		.amdhsa_user_sgpr_private_segment_size 0
		.amdhsa_wavefront_size32 1
		.amdhsa_uses_dynamic_stack 0
		.amdhsa_system_sgpr_private_segment_wavefront_offset 0
		.amdhsa_system_sgpr_workgroup_id_x 1
		.amdhsa_system_sgpr_workgroup_id_y 0
		.amdhsa_system_sgpr_workgroup_id_z 0
		.amdhsa_system_sgpr_workgroup_info 0
		.amdhsa_system_vgpr_workitem_id 0
		.amdhsa_next_free_vgpr 26
		.amdhsa_next_free_sgpr 7
		.amdhsa_reserve_vcc 1
		.amdhsa_reserve_flat_scratch 0
		.amdhsa_float_round_mode_32 0
		.amdhsa_float_round_mode_16_64 0
		.amdhsa_float_denorm_mode_32 3
		.amdhsa_float_denorm_mode_16_64 3
		.amdhsa_dx10_clamp 1
		.amdhsa_ieee_mode 1
		.amdhsa_fp16_overflow 0
		.amdhsa_workgroup_processor_mode 1
		.amdhsa_memory_ordered 1
		.amdhsa_forward_progress 1
		.amdhsa_shared_vgpr_count 0
		.amdhsa_exception_fp_ieee_invalid_op 0
		.amdhsa_exception_fp_denorm_src 0
		.amdhsa_exception_fp_ieee_div_zero 0
		.amdhsa_exception_fp_ieee_overflow 0
		.amdhsa_exception_fp_ieee_underflow 0
		.amdhsa_exception_fp_ieee_inexact 0
		.amdhsa_exception_int_div_zero 0
	.end_amdhsa_kernel
	.section	.text._Z17warp_store_kernelILj256ELj64ELj64ELN6hipcub18WarpStoreAlgorithmE0EdEvPT3_,"axG",@progbits,_Z17warp_store_kernelILj256ELj64ELj64ELN6hipcub18WarpStoreAlgorithmE0EdEvPT3_,comdat
.Lfunc_end70:
	.size	_Z17warp_store_kernelILj256ELj64ELj64ELN6hipcub18WarpStoreAlgorithmE0EdEvPT3_, .Lfunc_end70-_Z17warp_store_kernelILj256ELj64ELj64ELN6hipcub18WarpStoreAlgorithmE0EdEvPT3_
                                        ; -- End function
	.set _Z17warp_store_kernelILj256ELj64ELj64ELN6hipcub18WarpStoreAlgorithmE0EdEvPT3_.num_vgpr, 26
	.set _Z17warp_store_kernelILj256ELj64ELj64ELN6hipcub18WarpStoreAlgorithmE0EdEvPT3_.num_agpr, 0
	.set _Z17warp_store_kernelILj256ELj64ELj64ELN6hipcub18WarpStoreAlgorithmE0EdEvPT3_.numbered_sgpr, 7
	.set _Z17warp_store_kernelILj256ELj64ELj64ELN6hipcub18WarpStoreAlgorithmE0EdEvPT3_.num_named_barrier, 0
	.set _Z17warp_store_kernelILj256ELj64ELj64ELN6hipcub18WarpStoreAlgorithmE0EdEvPT3_.private_seg_size, 0
	.set _Z17warp_store_kernelILj256ELj64ELj64ELN6hipcub18WarpStoreAlgorithmE0EdEvPT3_.uses_vcc, 1
	.set _Z17warp_store_kernelILj256ELj64ELj64ELN6hipcub18WarpStoreAlgorithmE0EdEvPT3_.uses_flat_scratch, 0
	.set _Z17warp_store_kernelILj256ELj64ELj64ELN6hipcub18WarpStoreAlgorithmE0EdEvPT3_.has_dyn_sized_stack, 0
	.set _Z17warp_store_kernelILj256ELj64ELj64ELN6hipcub18WarpStoreAlgorithmE0EdEvPT3_.has_recursion, 0
	.set _Z17warp_store_kernelILj256ELj64ELj64ELN6hipcub18WarpStoreAlgorithmE0EdEvPT3_.has_indirect_call, 0
	.section	.AMDGPU.csdata,"",@progbits
; Kernel info:
; codeLenInByte = 896
; TotalNumSgprs: 9
; NumVgprs: 26
; ScratchSize: 0
; MemoryBound: 1
; FloatMode: 240
; IeeeMode: 1
; LDSByteSize: 0 bytes/workgroup (compile time only)
; SGPRBlocks: 0
; VGPRBlocks: 3
; NumSGPRsForWavesPerEU: 9
; NumVGPRsForWavesPerEU: 26
; Occupancy: 16
; WaveLimiterHint : 1
; COMPUTE_PGM_RSRC2:SCRATCH_EN: 0
; COMPUTE_PGM_RSRC2:USER_SGPR: 6
; COMPUTE_PGM_RSRC2:TRAP_HANDLER: 0
; COMPUTE_PGM_RSRC2:TGID_X_EN: 1
; COMPUTE_PGM_RSRC2:TGID_Y_EN: 0
; COMPUTE_PGM_RSRC2:TGID_Z_EN: 0
; COMPUTE_PGM_RSRC2:TIDIG_COMP_CNT: 0
	.section	.text._Z17warp_store_kernelILj256ELj64ELj64ELN6hipcub18WarpStoreAlgorithmE1EdEvPT3_,"axG",@progbits,_Z17warp_store_kernelILj256ELj64ELj64ELN6hipcub18WarpStoreAlgorithmE1EdEvPT3_,comdat
	.protected	_Z17warp_store_kernelILj256ELj64ELj64ELN6hipcub18WarpStoreAlgorithmE1EdEvPT3_ ; -- Begin function _Z17warp_store_kernelILj256ELj64ELj64ELN6hipcub18WarpStoreAlgorithmE1EdEvPT3_
	.globl	_Z17warp_store_kernelILj256ELj64ELj64ELN6hipcub18WarpStoreAlgorithmE1EdEvPT3_
	.p2align	8
	.type	_Z17warp_store_kernelILj256ELj64ELj64ELN6hipcub18WarpStoreAlgorithmE1EdEvPT3_,@function
_Z17warp_store_kernelILj256ELj64ELj64ELN6hipcub18WarpStoreAlgorithmE1EdEvPT3_: ; @_Z17warp_store_kernelILj256ELj64ELj64ELN6hipcub18WarpStoreAlgorithmE1EdEvPT3_
; %bb.0:
	s_load_dwordx2 s[0:1], s[4:5], 0x0
	v_lshlrev_b32_e32 v0, 6, v0
	s_lshl_b32 s2, s6, 14
	v_mov_b32_e32 v1, 0
	v_mbcnt_lo_u32_b32 v2, -1, 0
	v_mov_b32_e32 v3, 0x3ff00000
	v_and_or_b32 v0, 0x3000, v0, s2
	v_mov_b32_e32 v6, 2.0
	v_mov_b32_e32 v8, 0x40080000
	v_lshlrev_b32_e32 v2, 3, v2
	v_mov_b32_e32 v7, v1
	v_lshlrev_b64 v[4:5], 3, v[0:1]
	v_mov_b32_e32 v0, v1
	v_mov_b32_e32 v10, 0x40100000
	;; [unrolled: 1-line block ×7, first 2 shown]
	s_waitcnt lgkmcnt(0)
	v_add_co_u32 v4, vcc_lo, s0, v4
	v_add_co_ci_u32_e64 v5, null, s1, v5, vcc_lo
	v_add_co_u32 v11, vcc_lo, v4, v2
	v_add_co_ci_u32_e64 v12, null, 0, v5, vcc_lo
	v_mov_b32_e32 v2, v1
	v_add_co_u32 v13, vcc_lo, 0x800, v11
	v_mov_b32_e32 v5, v1
	v_add_co_ci_u32_e64 v14, null, 0, v12, vcc_lo
	v_add_co_u32 v15, vcc_lo, v11, 0x1000
	v_add_co_ci_u32_e64 v16, null, 0, v12, vcc_lo
	global_store_dwordx2 v[11:12], v[0:1], off
	global_store_dwordx2 v[11:12], v[2:3], off offset:512
	global_store_dwordx2 v[11:12], v[5:6], off offset:1024
	;; [unrolled: 1-line block ×3, first 2 shown]
	global_store_dwordx2 v[15:16], v[9:10], off offset:-2048
	global_store_dwordx2 v[13:14], v[17:18], off offset:512
	v_mov_b32_e32 v3, 0x40180000
	v_mov_b32_e32 v5, 0x401c0000
	;; [unrolled: 1-line block ×3, first 2 shown]
	v_add_co_u32 v6, vcc_lo, 0x1000, v11
	v_mov_b32_e32 v9, 0x40200000
	v_mov_b32_e32 v8, v1
	v_add_co_ci_u32_e64 v7, null, 0, v12, vcc_lo
	v_mov_b32_e32 v18, 0x40220000
	global_store_dwordx2 v[13:14], v[2:3], off offset:1024
	global_store_dwordx2 v[13:14], v[4:5], off offset:1536
	global_store_dwordx2 v[15:16], v[8:9], off
	global_store_dwordx2 v[6:7], v[17:18], off offset:512
	global_store_dwordx2 v[6:7], v[19:20], off offset:1024
	v_add_co_u32 v4, vcc_lo, 0x1800, v11
	v_add_co_ci_u32_e64 v5, null, 0, v12, vcc_lo
	v_add_co_u32 v13, vcc_lo, v11, 0x2000
	v_mov_b32_e32 v3, 0x40260000
	v_mov_b32_e32 v9, 0x40280000
	v_add_co_ci_u32_e64 v14, null, 0, v12, vcc_lo
	v_mov_b32_e32 v16, 0x402a0000
	v_mov_b32_e32 v15, v1
	v_mov_b32_e32 v18, 0x402c0000
	v_mov_b32_e32 v20, 0x402e0000
	global_store_dwordx2 v[6:7], v[2:3], off offset:1536
	global_store_dwordx2 v[13:14], v[8:9], off offset:-2048
	global_store_dwordx2 v[4:5], v[15:16], off offset:512
	global_store_dwordx2 v[4:5], v[17:18], off offset:1024
	global_store_dwordx2 v[4:5], v[19:20], off offset:1536
	v_mov_b32_e32 v3, 0x40300000
	v_add_co_u32 v4, vcc_lo, 0x2000, v11
	v_add_co_ci_u32_e64 v5, null, 0, v12, vcc_lo
	global_store_dwordx2 v[13:14], v[2:3], off
	v_add_co_u32 v13, vcc_lo, 0x2800, v11
	v_mov_b32_e32 v3, 0x40310000
	v_mov_b32_e32 v7, 0x40320000
	v_mov_b32_e32 v6, v1
	v_add_co_ci_u32_e64 v14, null, 0, v12, vcc_lo
	v_add_co_u32 v17, vcc_lo, v11, 0x3000
	v_mov_b32_e32 v9, 0x40330000
	v_mov_b32_e32 v16, 0x40340000
	v_add_co_ci_u32_e64 v18, null, 0, v12, vcc_lo
	v_mov_b32_e32 v20, 0x40350000
	global_store_dwordx2 v[4:5], v[2:3], off offset:512
	global_store_dwordx2 v[4:5], v[6:7], off offset:1024
	global_store_dwordx2 v[4:5], v[8:9], off offset:1536
	global_store_dwordx2 v[17:18], v[15:16], off offset:-2048
	global_store_dwordx2 v[13:14], v[19:20], off offset:512
	v_mov_b32_e32 v3, 0x40360000
	v_mov_b32_e32 v5, 0x40370000
	v_mov_b32_e32 v4, v1
	v_add_co_u32 v6, vcc_lo, 0x3000, v11
	v_mov_b32_e32 v9, 0x40380000
	v_add_co_ci_u32_e64 v7, null, 0, v12, vcc_lo
	v_mov_b32_e32 v16, 0x40390000
	v_mov_b32_e32 v20, 0x403a0000
	global_store_dwordx2 v[13:14], v[2:3], off offset:1024
	global_store_dwordx2 v[13:14], v[4:5], off offset:1536
	global_store_dwordx2 v[17:18], v[8:9], off
	global_store_dwordx2 v[6:7], v[15:16], off offset:512
	global_store_dwordx2 v[6:7], v[19:20], off offset:1024
	v_add_co_u32 v4, vcc_lo, 0x3800, v11
	v_add_co_ci_u32_e64 v5, null, 0, v12, vcc_lo
	v_add_co_u32 v13, vcc_lo, v11, 0x4000
	v_mov_b32_e32 v3, 0x403b0000
	v_mov_b32_e32 v9, 0x403c0000
	v_add_co_ci_u32_e64 v14, null, 0, v12, vcc_lo
	v_mov_b32_e32 v16, 0x403d0000
	v_mov_b32_e32 v18, 0x403e0000
	v_mov_b32_e32 v17, v1
	v_mov_b32_e32 v20, 0x403f0000
	global_store_dwordx2 v[6:7], v[2:3], off offset:1536
	global_store_dwordx2 v[13:14], v[8:9], off offset:-2048
	global_store_dwordx2 v[4:5], v[15:16], off offset:512
	global_store_dwordx2 v[4:5], v[17:18], off offset:1024
	global_store_dwordx2 v[4:5], v[19:20], off offset:1536
	v_mov_b32_e32 v3, 0x40400000
	v_add_co_u32 v4, vcc_lo, 0x4000, v11
	v_add_co_ci_u32_e64 v5, null, 0, v12, vcc_lo
	global_store_dwordx2 v[13:14], v[2:3], off
	v_add_co_u32 v13, vcc_lo, 0x4800, v11
	v_mov_b32_e32 v3, 0x40408000
	v_mov_b32_e32 v7, 0x40410000
	v_mov_b32_e32 v6, v1
	v_add_co_ci_u32_e64 v14, null, 0, v12, vcc_lo
	v_add_co_u32 v17, vcc_lo, v11, 0x5000
	v_mov_b32_e32 v9, 0x40418000
	v_mov_b32_e32 v16, 0x40420000
	v_add_co_ci_u32_e64 v18, null, 0, v12, vcc_lo
	v_mov_b32_e32 v20, 0x40428000
	global_store_dwordx2 v[4:5], v[2:3], off offset:512
	global_store_dwordx2 v[4:5], v[6:7], off offset:1024
	global_store_dwordx2 v[4:5], v[8:9], off offset:1536
	global_store_dwordx2 v[17:18], v[15:16], off offset:-2048
	global_store_dwordx2 v[13:14], v[19:20], off offset:512
	v_mov_b32_e32 v3, 0x40430000
	v_mov_b32_e32 v5, 0x40438000
	v_mov_b32_e32 v4, v1
	v_add_co_u32 v6, vcc_lo, 0x5000, v11
	v_mov_b32_e32 v9, 0x40440000
	v_add_co_ci_u32_e64 v7, null, 0, v12, vcc_lo
	v_mov_b32_e32 v16, 0x40448000
	;; [unrolled: 47-line block ×3, first 2 shown]
	v_mov_b32_e32 v20, 0x404d0000
	global_store_dwordx2 v[13:14], v[2:3], off offset:1024
	global_store_dwordx2 v[13:14], v[4:5], off offset:1536
	global_store_dwordx2 v[17:18], v[8:9], off
	global_store_dwordx2 v[6:7], v[15:16], off offset:512
	global_store_dwordx2 v[6:7], v[19:20], off offset:1024
	v_add_co_u32 v4, vcc_lo, 0x7800, v11
	v_mov_b32_e32 v3, 0x404d8000
	v_add_co_ci_u32_e64 v5, null, 0, v12, vcc_lo
	v_mov_b32_e32 v9, 0x404e0000
	v_mov_b32_e32 v11, 0x404e8000
	v_mov_b32_e32 v10, v1
	v_mov_b32_e32 v13, 0x404f0000
	v_mov_b32_e32 v12, v1
	v_mov_b32_e32 v15, 0x404f8000
	v_mov_b32_e32 v14, v1
	global_store_dwordx2 v[6:7], v[2:3], off offset:1536
	global_store_dwordx2 v[4:5], v[8:9], off
	global_store_dwordx2 v[4:5], v[10:11], off offset:512
	global_store_dwordx2 v[4:5], v[12:13], off offset:1024
	global_store_dwordx2 v[4:5], v[14:15], off offset:1536
	s_endpgm
	.section	.rodata,"a",@progbits
	.p2align	6, 0x0
	.amdhsa_kernel _Z17warp_store_kernelILj256ELj64ELj64ELN6hipcub18WarpStoreAlgorithmE1EdEvPT3_
		.amdhsa_group_segment_fixed_size 0
		.amdhsa_private_segment_fixed_size 0
		.amdhsa_kernarg_size 8
		.amdhsa_user_sgpr_count 6
		.amdhsa_user_sgpr_private_segment_buffer 1
		.amdhsa_user_sgpr_dispatch_ptr 0
		.amdhsa_user_sgpr_queue_ptr 0
		.amdhsa_user_sgpr_kernarg_segment_ptr 1
		.amdhsa_user_sgpr_dispatch_id 0
		.amdhsa_user_sgpr_flat_scratch_init 0
		.amdhsa_user_sgpr_private_segment_size 0
		.amdhsa_wavefront_size32 1
		.amdhsa_uses_dynamic_stack 0
		.amdhsa_system_sgpr_private_segment_wavefront_offset 0
		.amdhsa_system_sgpr_workgroup_id_x 1
		.amdhsa_system_sgpr_workgroup_id_y 0
		.amdhsa_system_sgpr_workgroup_id_z 0
		.amdhsa_system_sgpr_workgroup_info 0
		.amdhsa_system_vgpr_workitem_id 0
		.amdhsa_next_free_vgpr 21
		.amdhsa_next_free_sgpr 7
		.amdhsa_reserve_vcc 1
		.amdhsa_reserve_flat_scratch 0
		.amdhsa_float_round_mode_32 0
		.amdhsa_float_round_mode_16_64 0
		.amdhsa_float_denorm_mode_32 3
		.amdhsa_float_denorm_mode_16_64 3
		.amdhsa_dx10_clamp 1
		.amdhsa_ieee_mode 1
		.amdhsa_fp16_overflow 0
		.amdhsa_workgroup_processor_mode 1
		.amdhsa_memory_ordered 1
		.amdhsa_forward_progress 1
		.amdhsa_shared_vgpr_count 0
		.amdhsa_exception_fp_ieee_invalid_op 0
		.amdhsa_exception_fp_denorm_src 0
		.amdhsa_exception_fp_ieee_div_zero 0
		.amdhsa_exception_fp_ieee_overflow 0
		.amdhsa_exception_fp_ieee_underflow 0
		.amdhsa_exception_fp_ieee_inexact 0
		.amdhsa_exception_int_div_zero 0
	.end_amdhsa_kernel
	.section	.text._Z17warp_store_kernelILj256ELj64ELj64ELN6hipcub18WarpStoreAlgorithmE1EdEvPT3_,"axG",@progbits,_Z17warp_store_kernelILj256ELj64ELj64ELN6hipcub18WarpStoreAlgorithmE1EdEvPT3_,comdat
.Lfunc_end71:
	.size	_Z17warp_store_kernelILj256ELj64ELj64ELN6hipcub18WarpStoreAlgorithmE1EdEvPT3_, .Lfunc_end71-_Z17warp_store_kernelILj256ELj64ELj64ELN6hipcub18WarpStoreAlgorithmE1EdEvPT3_
                                        ; -- End function
	.set _Z17warp_store_kernelILj256ELj64ELj64ELN6hipcub18WarpStoreAlgorithmE1EdEvPT3_.num_vgpr, 21
	.set _Z17warp_store_kernelILj256ELj64ELj64ELN6hipcub18WarpStoreAlgorithmE1EdEvPT3_.num_agpr, 0
	.set _Z17warp_store_kernelILj256ELj64ELj64ELN6hipcub18WarpStoreAlgorithmE1EdEvPT3_.numbered_sgpr, 7
	.set _Z17warp_store_kernelILj256ELj64ELj64ELN6hipcub18WarpStoreAlgorithmE1EdEvPT3_.num_named_barrier, 0
	.set _Z17warp_store_kernelILj256ELj64ELj64ELN6hipcub18WarpStoreAlgorithmE1EdEvPT3_.private_seg_size, 0
	.set _Z17warp_store_kernelILj256ELj64ELj64ELN6hipcub18WarpStoreAlgorithmE1EdEvPT3_.uses_vcc, 1
	.set _Z17warp_store_kernelILj256ELj64ELj64ELN6hipcub18WarpStoreAlgorithmE1EdEvPT3_.uses_flat_scratch, 0
	.set _Z17warp_store_kernelILj256ELj64ELj64ELN6hipcub18WarpStoreAlgorithmE1EdEvPT3_.has_dyn_sized_stack, 0
	.set _Z17warp_store_kernelILj256ELj64ELj64ELN6hipcub18WarpStoreAlgorithmE1EdEvPT3_.has_recursion, 0
	.set _Z17warp_store_kernelILj256ELj64ELj64ELN6hipcub18WarpStoreAlgorithmE1EdEvPT3_.has_indirect_call, 0
	.section	.AMDGPU.csdata,"",@progbits
; Kernel info:
; codeLenInByte = 1628
; TotalNumSgprs: 9
; NumVgprs: 21
; ScratchSize: 0
; MemoryBound: 1
; FloatMode: 240
; IeeeMode: 1
; LDSByteSize: 0 bytes/workgroup (compile time only)
; SGPRBlocks: 0
; VGPRBlocks: 2
; NumSGPRsForWavesPerEU: 9
; NumVGPRsForWavesPerEU: 21
; Occupancy: 16
; WaveLimiterHint : 1
; COMPUTE_PGM_RSRC2:SCRATCH_EN: 0
; COMPUTE_PGM_RSRC2:USER_SGPR: 6
; COMPUTE_PGM_RSRC2:TRAP_HANDLER: 0
; COMPUTE_PGM_RSRC2:TGID_X_EN: 1
; COMPUTE_PGM_RSRC2:TGID_Y_EN: 0
; COMPUTE_PGM_RSRC2:TGID_Z_EN: 0
; COMPUTE_PGM_RSRC2:TIDIG_COMP_CNT: 0
	.section	.text._Z17warp_store_kernelILj256ELj64ELj64ELN6hipcub18WarpStoreAlgorithmE2EdEvPT3_,"axG",@progbits,_Z17warp_store_kernelILj256ELj64ELj64ELN6hipcub18WarpStoreAlgorithmE2EdEvPT3_,comdat
	.protected	_Z17warp_store_kernelILj256ELj64ELj64ELN6hipcub18WarpStoreAlgorithmE2EdEvPT3_ ; -- Begin function _Z17warp_store_kernelILj256ELj64ELj64ELN6hipcub18WarpStoreAlgorithmE2EdEvPT3_
	.globl	_Z17warp_store_kernelILj256ELj64ELj64ELN6hipcub18WarpStoreAlgorithmE2EdEvPT3_
	.p2align	8
	.type	_Z17warp_store_kernelILj256ELj64ELj64ELN6hipcub18WarpStoreAlgorithmE2EdEvPT3_,@function
_Z17warp_store_kernelILj256ELj64ELj64ELN6hipcub18WarpStoreAlgorithmE2EdEvPT3_: ; @_Z17warp_store_kernelILj256ELj64ELj64ELN6hipcub18WarpStoreAlgorithmE2EdEvPT3_
; %bb.0:
	s_load_dwordx2 s[0:1], s[4:5], 0x0
	v_lshlrev_b32_e32 v0, 6, v0
	s_lshl_b32 s2, s6, 14
	v_mov_b32_e32 v1, 0
	v_mbcnt_lo_u32_b32 v2, -1, 0
	v_mov_b32_e32 v3, 0x3ff00000
	v_and_or_b32 v0, 0x3000, v0, s2
	v_mov_b32_e32 v5, 2.0
	v_mov_b32_e32 v7, 0x40080000
	v_lshlrev_b32_e32 v6, 9, v2
	v_mov_b32_e32 v2, v1
	v_lshlrev_b64 v[12:13], 3, v[0:1]
	v_mov_b32_e32 v0, v1
	v_mov_b32_e32 v4, v1
	;; [unrolled: 1-line block ×8, first 2 shown]
	s_waitcnt lgkmcnt(0)
	v_add_co_u32 v8, vcc_lo, s0, v12
	v_add_co_ci_u32_e64 v10, null, s1, v13, vcc_lo
	v_mov_b32_e32 v13, 0x40180000
	v_add_co_u32 v24, vcc_lo, v8, v6
	v_add_co_ci_u32_e64 v25, null, 0, v10, vcc_lo
	v_mov_b32_e32 v6, v1
	v_mov_b32_e32 v8, v1
	;; [unrolled: 1-line block ×4, first 2 shown]
	global_store_dwordx4 v[24:25], v[0:3], off
	global_store_dwordx4 v[24:25], v[4:7], off offset:16
	v_mov_b32_e32 v3, 0x40200000
	v_mov_b32_e32 v5, 0x40220000
	v_mov_b32_e32 v16, v1
	v_mov_b32_e32 v18, v1
	v_mov_b32_e32 v21, 0x40280000
	v_mov_b32_e32 v23, 0x402a0000
	v_mov_b32_e32 v20, v1
	v_mov_b32_e32 v22, v1
	global_store_dwordx4 v[24:25], v[8:11], off offset:32
	global_store_dwordx4 v[24:25], v[12:15], off offset:48
	global_store_dwordx4 v[24:25], v[2:5], off offset:64
	global_store_dwordx4 v[24:25], v[16:19], off offset:80
	global_store_dwordx4 v[24:25], v[20:23], off offset:96
	v_mov_b32_e32 v3, 0x402c0000
	v_mov_b32_e32 v5, 0x402e0000
	v_mov_b32_e32 v7, 0x40300000
	v_mov_b32_e32 v9, 0x40310000
	v_mov_b32_e32 v11, 0x40320000
	v_mov_b32_e32 v13, 0x40330000
	v_mov_b32_e32 v15, 0x40340000
	v_mov_b32_e32 v17, 0x40350000
	v_mov_b32_e32 v19, 0x40360000
	v_mov_b32_e32 v21, 0x40370000
	global_store_dwordx4 v[24:25], v[2:5], off offset:112
	global_store_dwordx4 v[24:25], v[6:9], off offset:128
	global_store_dwordx4 v[24:25], v[10:13], off offset:144
	global_store_dwordx4 v[24:25], v[14:17], off offset:160
	global_store_dwordx4 v[24:25], v[18:21], off offset:176
	v_mov_b32_e32 v3, 0x40380000
	v_mov_b32_e32 v5, 0x40390000
	v_mov_b32_e32 v7, 0x403a0000
	v_mov_b32_e32 v9, 0x403b0000
	v_mov_b32_e32 v11, 0x403c0000
	v_mov_b32_e32 v13, 0x403d0000
	v_mov_b32_e32 v15, 0x403e0000
	v_mov_b32_e32 v17, 0x403f0000
	v_mov_b32_e32 v19, 0x40400000
	v_mov_b32_e32 v21, 0x40408000
	global_store_dwordx4 v[24:25], v[2:5], off offset:192
	global_store_dwordx4 v[24:25], v[6:9], off offset:208
	global_store_dwordx4 v[24:25], v[10:13], off offset:224
	global_store_dwordx4 v[24:25], v[14:17], off offset:240
	global_store_dwordx4 v[24:25], v[18:21], off offset:256
	v_mov_b32_e32 v3, 0x40410000
	v_mov_b32_e32 v5, 0x40418000
	v_mov_b32_e32 v7, 0x40420000
	v_mov_b32_e32 v9, 0x40428000
	v_mov_b32_e32 v11, 0x40430000
	v_mov_b32_e32 v13, 0x40438000
	v_mov_b32_e32 v15, 0x40440000
	v_mov_b32_e32 v17, 0x40448000
	v_mov_b32_e32 v19, 0x40450000
	v_mov_b32_e32 v21, 0x40458000
	global_store_dwordx4 v[24:25], v[2:5], off offset:272
	global_store_dwordx4 v[24:25], v[6:9], off offset:288
	global_store_dwordx4 v[24:25], v[10:13], off offset:304
	global_store_dwordx4 v[24:25], v[14:17], off offset:320
	global_store_dwordx4 v[24:25], v[18:21], off offset:336
	v_mov_b32_e32 v3, 0x40460000
	v_mov_b32_e32 v5, 0x40468000
	v_mov_b32_e32 v7, 0x40470000
	v_mov_b32_e32 v9, 0x40478000
	v_mov_b32_e32 v11, 0x40480000
	v_mov_b32_e32 v13, 0x40488000
	v_mov_b32_e32 v15, 0x40490000
	v_mov_b32_e32 v17, 0x40498000
	v_mov_b32_e32 v19, 0x404a0000
	v_mov_b32_e32 v21, 0x404a8000
	global_store_dwordx4 v[24:25], v[2:5], off offset:352
	global_store_dwordx4 v[24:25], v[6:9], off offset:368
	global_store_dwordx4 v[24:25], v[10:13], off offset:384
	global_store_dwordx4 v[24:25], v[14:17], off offset:400
	global_store_dwordx4 v[24:25], v[18:21], off offset:416
	v_mov_b32_e32 v3, 0x404b0000
	v_mov_b32_e32 v5, 0x404b8000
	v_mov_b32_e32 v7, 0x404c0000
	v_mov_b32_e32 v9, 0x404c8000
	;; [unrolled: 1-line block ×8, first 2 shown]
	global_store_dwordx4 v[24:25], v[2:5], off offset:432
	global_store_dwordx4 v[24:25], v[6:9], off offset:448
	;; [unrolled: 1-line block ×5, first 2 shown]
	s_endpgm
	.section	.rodata,"a",@progbits
	.p2align	6, 0x0
	.amdhsa_kernel _Z17warp_store_kernelILj256ELj64ELj64ELN6hipcub18WarpStoreAlgorithmE2EdEvPT3_
		.amdhsa_group_segment_fixed_size 0
		.amdhsa_private_segment_fixed_size 0
		.amdhsa_kernarg_size 8
		.amdhsa_user_sgpr_count 6
		.amdhsa_user_sgpr_private_segment_buffer 1
		.amdhsa_user_sgpr_dispatch_ptr 0
		.amdhsa_user_sgpr_queue_ptr 0
		.amdhsa_user_sgpr_kernarg_segment_ptr 1
		.amdhsa_user_sgpr_dispatch_id 0
		.amdhsa_user_sgpr_flat_scratch_init 0
		.amdhsa_user_sgpr_private_segment_size 0
		.amdhsa_wavefront_size32 1
		.amdhsa_uses_dynamic_stack 0
		.amdhsa_system_sgpr_private_segment_wavefront_offset 0
		.amdhsa_system_sgpr_workgroup_id_x 1
		.amdhsa_system_sgpr_workgroup_id_y 0
		.amdhsa_system_sgpr_workgroup_id_z 0
		.amdhsa_system_sgpr_workgroup_info 0
		.amdhsa_system_vgpr_workitem_id 0
		.amdhsa_next_free_vgpr 26
		.amdhsa_next_free_sgpr 7
		.amdhsa_reserve_vcc 1
		.amdhsa_reserve_flat_scratch 0
		.amdhsa_float_round_mode_32 0
		.amdhsa_float_round_mode_16_64 0
		.amdhsa_float_denorm_mode_32 3
		.amdhsa_float_denorm_mode_16_64 3
		.amdhsa_dx10_clamp 1
		.amdhsa_ieee_mode 1
		.amdhsa_fp16_overflow 0
		.amdhsa_workgroup_processor_mode 1
		.amdhsa_memory_ordered 1
		.amdhsa_forward_progress 1
		.amdhsa_shared_vgpr_count 0
		.amdhsa_exception_fp_ieee_invalid_op 0
		.amdhsa_exception_fp_denorm_src 0
		.amdhsa_exception_fp_ieee_div_zero 0
		.amdhsa_exception_fp_ieee_overflow 0
		.amdhsa_exception_fp_ieee_underflow 0
		.amdhsa_exception_fp_ieee_inexact 0
		.amdhsa_exception_int_div_zero 0
	.end_amdhsa_kernel
	.section	.text._Z17warp_store_kernelILj256ELj64ELj64ELN6hipcub18WarpStoreAlgorithmE2EdEvPT3_,"axG",@progbits,_Z17warp_store_kernelILj256ELj64ELj64ELN6hipcub18WarpStoreAlgorithmE2EdEvPT3_,comdat
.Lfunc_end72:
	.size	_Z17warp_store_kernelILj256ELj64ELj64ELN6hipcub18WarpStoreAlgorithmE2EdEvPT3_, .Lfunc_end72-_Z17warp_store_kernelILj256ELj64ELj64ELN6hipcub18WarpStoreAlgorithmE2EdEvPT3_
                                        ; -- End function
	.set _Z17warp_store_kernelILj256ELj64ELj64ELN6hipcub18WarpStoreAlgorithmE2EdEvPT3_.num_vgpr, 26
	.set _Z17warp_store_kernelILj256ELj64ELj64ELN6hipcub18WarpStoreAlgorithmE2EdEvPT3_.num_agpr, 0
	.set _Z17warp_store_kernelILj256ELj64ELj64ELN6hipcub18WarpStoreAlgorithmE2EdEvPT3_.numbered_sgpr, 7
	.set _Z17warp_store_kernelILj256ELj64ELj64ELN6hipcub18WarpStoreAlgorithmE2EdEvPT3_.num_named_barrier, 0
	.set _Z17warp_store_kernelILj256ELj64ELj64ELN6hipcub18WarpStoreAlgorithmE2EdEvPT3_.private_seg_size, 0
	.set _Z17warp_store_kernelILj256ELj64ELj64ELN6hipcub18WarpStoreAlgorithmE2EdEvPT3_.uses_vcc, 1
	.set _Z17warp_store_kernelILj256ELj64ELj64ELN6hipcub18WarpStoreAlgorithmE2EdEvPT3_.uses_flat_scratch, 0
	.set _Z17warp_store_kernelILj256ELj64ELj64ELN6hipcub18WarpStoreAlgorithmE2EdEvPT3_.has_dyn_sized_stack, 0
	.set _Z17warp_store_kernelILj256ELj64ELj64ELN6hipcub18WarpStoreAlgorithmE2EdEvPT3_.has_recursion, 0
	.set _Z17warp_store_kernelILj256ELj64ELj64ELN6hipcub18WarpStoreAlgorithmE2EdEvPT3_.has_indirect_call, 0
	.section	.AMDGPU.csdata,"",@progbits
; Kernel info:
; codeLenInByte = 896
; TotalNumSgprs: 9
; NumVgprs: 26
; ScratchSize: 0
; MemoryBound: 1
; FloatMode: 240
; IeeeMode: 1
; LDSByteSize: 0 bytes/workgroup (compile time only)
; SGPRBlocks: 0
; VGPRBlocks: 3
; NumSGPRsForWavesPerEU: 9
; NumVGPRsForWavesPerEU: 26
; Occupancy: 16
; WaveLimiterHint : 1
; COMPUTE_PGM_RSRC2:SCRATCH_EN: 0
; COMPUTE_PGM_RSRC2:USER_SGPR: 6
; COMPUTE_PGM_RSRC2:TRAP_HANDLER: 0
; COMPUTE_PGM_RSRC2:TGID_X_EN: 1
; COMPUTE_PGM_RSRC2:TGID_Y_EN: 0
; COMPUTE_PGM_RSRC2:TGID_Z_EN: 0
; COMPUTE_PGM_RSRC2:TIDIG_COMP_CNT: 0
	.section	.AMDGPU.gpr_maximums,"",@progbits
	.set amdgpu.max_num_vgpr, 0
	.set amdgpu.max_num_agpr, 0
	.set amdgpu.max_num_sgpr, 0
	.section	.AMDGPU.csdata,"",@progbits
	.type	__hip_cuid_27b5b4d55aa59c26,@object ; @__hip_cuid_27b5b4d55aa59c26
	.section	.bss,"aw",@nobits
	.globl	__hip_cuid_27b5b4d55aa59c26
__hip_cuid_27b5b4d55aa59c26:
	.byte	0                               ; 0x0
	.size	__hip_cuid_27b5b4d55aa59c26, 1

	.ident	"AMD clang version 22.0.0git (https://github.com/RadeonOpenCompute/llvm-project roc-7.2.4 26084 f58b06dce1f9c15707c5f808fd002e18c2accf7e)"
	.section	".note.GNU-stack","",@progbits
	.addrsig
	.addrsig_sym __hip_cuid_27b5b4d55aa59c26
	.amdgpu_metadata
---
amdhsa.kernels:
  - .args:
      - .address_space:  global
        .offset:         0
        .size:           8
        .value_kind:     global_buffer
    .group_segment_fixed_size: 0
    .kernarg_segment_align: 8
    .kernarg_segment_size: 8
    .language:       OpenCL C
    .language_version:
      - 2
      - 0
    .max_flat_workgroup_size: 256
    .name:           _Z17warp_store_kernelILj256ELj4ELj32ELN6hipcub18WarpStoreAlgorithmE0EiEvPT3_
    .private_segment_fixed_size: 0
    .sgpr_count:     9
    .sgpr_spill_count: 0
    .symbol:         _Z17warp_store_kernelILj256ELj4ELj32ELN6hipcub18WarpStoreAlgorithmE0EiEvPT3_.kd
    .uniform_work_group_size: 1
    .uses_dynamic_stack: false
    .vgpr_count:     7
    .vgpr_spill_count: 0
    .wavefront_size: 32
    .workgroup_processor_mode: 1
  - .args:
      - .address_space:  global
        .offset:         0
        .size:           8
        .value_kind:     global_buffer
    .group_segment_fixed_size: 0
    .kernarg_segment_align: 8
    .kernarg_segment_size: 8
    .language:       OpenCL C
    .language_version:
      - 2
      - 0
    .max_flat_workgroup_size: 256
    .name:           _Z17warp_store_kernelILj256ELj4ELj32ELN6hipcub18WarpStoreAlgorithmE1EiEvPT3_
    .private_segment_fixed_size: 0
    .sgpr_count:     9
    .sgpr_spill_count: 0
    .symbol:         _Z17warp_store_kernelILj256ELj4ELj32ELN6hipcub18WarpStoreAlgorithmE1EiEvPT3_.kd
    .uniform_work_group_size: 1
    .uses_dynamic_stack: false
    .vgpr_count:     6
    .vgpr_spill_count: 0
    .wavefront_size: 32
    .workgroup_processor_mode: 1
  - .args:
      - .address_space:  global
        .offset:         0
        .size:           8
        .value_kind:     global_buffer
    .group_segment_fixed_size: 0
    .kernarg_segment_align: 8
    .kernarg_segment_size: 8
    .language:       OpenCL C
    .language_version:
      - 2
      - 0
    .max_flat_workgroup_size: 256
    .name:           _Z17warp_store_kernelILj256ELj4ELj32ELN6hipcub18WarpStoreAlgorithmE2EiEvPT3_
    .private_segment_fixed_size: 0
    .sgpr_count:     9
    .sgpr_spill_count: 0
    .symbol:         _Z17warp_store_kernelILj256ELj4ELj32ELN6hipcub18WarpStoreAlgorithmE2EiEvPT3_.kd
    .uniform_work_group_size: 1
    .uses_dynamic_stack: false
    .vgpr_count:     7
    .vgpr_spill_count: 0
    .wavefront_size: 32
    .workgroup_processor_mode: 1
  - .args:
      - .address_space:  global
        .offset:         0
        .size:           8
        .value_kind:     global_buffer
    .group_segment_fixed_size: 4096
    .kernarg_segment_align: 8
    .kernarg_segment_size: 8
    .language:       OpenCL C
    .language_version:
      - 2
      - 0
    .max_flat_workgroup_size: 256
    .name:           _Z17warp_store_kernelILj256ELj4ELj32ELN6hipcub18WarpStoreAlgorithmE3EiEvPT3_
    .private_segment_fixed_size: 0
    .sgpr_count:     9
    .sgpr_spill_count: 0
    .symbol:         _Z17warp_store_kernelILj256ELj4ELj32ELN6hipcub18WarpStoreAlgorithmE3EiEvPT3_.kd
    .uniform_work_group_size: 1
    .uses_dynamic_stack: false
    .vgpr_count:     9
    .vgpr_spill_count: 0
    .wavefront_size: 32
    .workgroup_processor_mode: 1
  - .args:
      - .address_space:  global
        .offset:         0
        .size:           8
        .value_kind:     global_buffer
    .group_segment_fixed_size: 0
    .kernarg_segment_align: 8
    .kernarg_segment_size: 8
    .language:       OpenCL C
    .language_version:
      - 2
      - 0
    .max_flat_workgroup_size: 256
    .name:           _Z17warp_store_kernelILj256ELj8ELj32ELN6hipcub18WarpStoreAlgorithmE0EiEvPT3_
    .private_segment_fixed_size: 0
    .sgpr_count:     9
    .sgpr_spill_count: 0
    .symbol:         _Z17warp_store_kernelILj256ELj8ELj32ELN6hipcub18WarpStoreAlgorithmE0EiEvPT3_.kd
    .uniform_work_group_size: 1
    .uses_dynamic_stack: false
    .vgpr_count:     11
    .vgpr_spill_count: 0
    .wavefront_size: 32
    .workgroup_processor_mode: 1
  - .args:
      - .address_space:  global
        .offset:         0
        .size:           8
        .value_kind:     global_buffer
    .group_segment_fixed_size: 0
    .kernarg_segment_align: 8
    .kernarg_segment_size: 8
    .language:       OpenCL C
    .language_version:
      - 2
      - 0
    .max_flat_workgroup_size: 256
    .name:           _Z17warp_store_kernelILj256ELj8ELj32ELN6hipcub18WarpStoreAlgorithmE1EiEvPT3_
    .private_segment_fixed_size: 0
    .sgpr_count:     9
    .sgpr_spill_count: 0
    .symbol:         _Z17warp_store_kernelILj256ELj8ELj32ELN6hipcub18WarpStoreAlgorithmE1EiEvPT3_.kd
    .uniform_work_group_size: 1
    .uses_dynamic_stack: false
    .vgpr_count:     10
    .vgpr_spill_count: 0
    .wavefront_size: 32
    .workgroup_processor_mode: 1
  - .args:
      - .address_space:  global
        .offset:         0
        .size:           8
        .value_kind:     global_buffer
    .group_segment_fixed_size: 0
    .kernarg_segment_align: 8
    .kernarg_segment_size: 8
    .language:       OpenCL C
    .language_version:
      - 2
      - 0
    .max_flat_workgroup_size: 256
    .name:           _Z17warp_store_kernelILj256ELj8ELj32ELN6hipcub18WarpStoreAlgorithmE2EiEvPT3_
    .private_segment_fixed_size: 0
    .sgpr_count:     9
    .sgpr_spill_count: 0
    .symbol:         _Z17warp_store_kernelILj256ELj8ELj32ELN6hipcub18WarpStoreAlgorithmE2EiEvPT3_.kd
    .uniform_work_group_size: 1
    .uses_dynamic_stack: false
    .vgpr_count:     11
    .vgpr_spill_count: 0
    .wavefront_size: 32
    .workgroup_processor_mode: 1
  - .args:
      - .address_space:  global
        .offset:         0
        .size:           8
        .value_kind:     global_buffer
    .group_segment_fixed_size: 8192
    .kernarg_segment_align: 8
    .kernarg_segment_size: 8
    .language:       OpenCL C
    .language_version:
      - 2
      - 0
    .max_flat_workgroup_size: 256
    .name:           _Z17warp_store_kernelILj256ELj8ELj32ELN6hipcub18WarpStoreAlgorithmE3EiEvPT3_
    .private_segment_fixed_size: 0
    .sgpr_count:     9
    .sgpr_spill_count: 0
    .symbol:         _Z17warp_store_kernelILj256ELj8ELj32ELN6hipcub18WarpStoreAlgorithmE3EiEvPT3_.kd
    .uniform_work_group_size: 1
    .uses_dynamic_stack: false
    .vgpr_count:     13
    .vgpr_spill_count: 0
    .wavefront_size: 32
    .workgroup_processor_mode: 1
  - .args:
      - .address_space:  global
        .offset:         0
        .size:           8
        .value_kind:     global_buffer
    .group_segment_fixed_size: 0
    .kernarg_segment_align: 8
    .kernarg_segment_size: 8
    .language:       OpenCL C
    .language_version:
      - 2
      - 0
    .max_flat_workgroup_size: 256
    .name:           _Z17warp_store_kernelILj256ELj16ELj32ELN6hipcub18WarpStoreAlgorithmE0EiEvPT3_
    .private_segment_fixed_size: 0
    .sgpr_count:     9
    .sgpr_spill_count: 0
    .symbol:         _Z17warp_store_kernelILj256ELj16ELj32ELN6hipcub18WarpStoreAlgorithmE0EiEvPT3_.kd
    .uniform_work_group_size: 1
    .uses_dynamic_stack: false
    .vgpr_count:     18
    .vgpr_spill_count: 0
    .wavefront_size: 32
    .workgroup_processor_mode: 1
  - .args:
      - .address_space:  global
        .offset:         0
        .size:           8
        .value_kind:     global_buffer
    .group_segment_fixed_size: 0
    .kernarg_segment_align: 8
    .kernarg_segment_size: 8
    .language:       OpenCL C
    .language_version:
      - 2
      - 0
    .max_flat_workgroup_size: 256
    .name:           _Z17warp_store_kernelILj256ELj16ELj32ELN6hipcub18WarpStoreAlgorithmE1EiEvPT3_
    .private_segment_fixed_size: 0
    .sgpr_count:     9
    .sgpr_spill_count: 0
    .symbol:         _Z17warp_store_kernelILj256ELj16ELj32ELN6hipcub18WarpStoreAlgorithmE1EiEvPT3_.kd
    .uniform_work_group_size: 1
    .uses_dynamic_stack: false
    .vgpr_count:     11
    .vgpr_spill_count: 0
    .wavefront_size: 32
    .workgroup_processor_mode: 1
  - .args:
      - .address_space:  global
        .offset:         0
        .size:           8
        .value_kind:     global_buffer
    .group_segment_fixed_size: 0
    .kernarg_segment_align: 8
    .kernarg_segment_size: 8
    .language:       OpenCL C
    .language_version:
      - 2
      - 0
    .max_flat_workgroup_size: 256
    .name:           _Z17warp_store_kernelILj256ELj16ELj32ELN6hipcub18WarpStoreAlgorithmE2EiEvPT3_
    .private_segment_fixed_size: 0
    .sgpr_count:     9
    .sgpr_spill_count: 0
    .symbol:         _Z17warp_store_kernelILj256ELj16ELj32ELN6hipcub18WarpStoreAlgorithmE2EiEvPT3_.kd
    .uniform_work_group_size: 1
    .uses_dynamic_stack: false
    .vgpr_count:     18
    .vgpr_spill_count: 0
    .wavefront_size: 32
    .workgroup_processor_mode: 1
  - .args:
      - .address_space:  global
        .offset:         0
        .size:           8
        .value_kind:     global_buffer
    .group_segment_fixed_size: 16384
    .kernarg_segment_align: 8
    .kernarg_segment_size: 8
    .language:       OpenCL C
    .language_version:
      - 2
      - 0
    .max_flat_workgroup_size: 256
    .name:           _Z17warp_store_kernelILj256ELj16ELj32ELN6hipcub18WarpStoreAlgorithmE3EiEvPT3_
    .private_segment_fixed_size: 0
    .sgpr_count:     9
    .sgpr_spill_count: 0
    .symbol:         _Z17warp_store_kernelILj256ELj16ELj32ELN6hipcub18WarpStoreAlgorithmE3EiEvPT3_.kd
    .uniform_work_group_size: 1
    .uses_dynamic_stack: false
    .vgpr_count:     20
    .vgpr_spill_count: 0
    .wavefront_size: 32
    .workgroup_processor_mode: 1
  - .args:
      - .address_space:  global
        .offset:         0
        .size:           8
        .value_kind:     global_buffer
    .group_segment_fixed_size: 0
    .kernarg_segment_align: 8
    .kernarg_segment_size: 8
    .language:       OpenCL C
    .language_version:
      - 2
      - 0
    .max_flat_workgroup_size: 256
    .name:           _Z17warp_store_kernelILj256ELj32ELj32ELN6hipcub18WarpStoreAlgorithmE0EiEvPT3_
    .private_segment_fixed_size: 0
    .sgpr_count:     9
    .sgpr_spill_count: 0
    .symbol:         _Z17warp_store_kernelILj256ELj32ELj32ELN6hipcub18WarpStoreAlgorithmE0EiEvPT3_.kd
    .uniform_work_group_size: 1
    .uses_dynamic_stack: false
    .vgpr_count:     22
    .vgpr_spill_count: 0
    .wavefront_size: 32
    .workgroup_processor_mode: 1
  - .args:
      - .address_space:  global
        .offset:         0
        .size:           8
        .value_kind:     global_buffer
    .group_segment_fixed_size: 0
    .kernarg_segment_align: 8
    .kernarg_segment_size: 8
    .language:       OpenCL C
    .language_version:
      - 2
      - 0
    .max_flat_workgroup_size: 256
    .name:           _Z17warp_store_kernelILj256ELj32ELj32ELN6hipcub18WarpStoreAlgorithmE1EiEvPT3_
    .private_segment_fixed_size: 0
    .sgpr_count:     9
    .sgpr_spill_count: 0
    .symbol:         _Z17warp_store_kernelILj256ELj32ELj32ELN6hipcub18WarpStoreAlgorithmE1EiEvPT3_.kd
    .uniform_work_group_size: 1
    .uses_dynamic_stack: false
    .vgpr_count:     10
    .vgpr_spill_count: 0
    .wavefront_size: 32
    .workgroup_processor_mode: 1
  - .args:
      - .address_space:  global
        .offset:         0
        .size:           8
        .value_kind:     global_buffer
    .group_segment_fixed_size: 0
    .kernarg_segment_align: 8
    .kernarg_segment_size: 8
    .language:       OpenCL C
    .language_version:
      - 2
      - 0
    .max_flat_workgroup_size: 256
    .name:           _Z17warp_store_kernelILj256ELj32ELj32ELN6hipcub18WarpStoreAlgorithmE2EiEvPT3_
    .private_segment_fixed_size: 0
    .sgpr_count:     9
    .sgpr_spill_count: 0
    .symbol:         _Z17warp_store_kernelILj256ELj32ELj32ELN6hipcub18WarpStoreAlgorithmE2EiEvPT3_.kd
    .uniform_work_group_size: 1
    .uses_dynamic_stack: false
    .vgpr_count:     22
    .vgpr_spill_count: 0
    .wavefront_size: 32
    .workgroup_processor_mode: 1
  - .args:
      - .address_space:  global
        .offset:         0
        .size:           8
        .value_kind:     global_buffer
    .group_segment_fixed_size: 32768
    .kernarg_segment_align: 8
    .kernarg_segment_size: 8
    .language:       OpenCL C
    .language_version:
      - 2
      - 0
    .max_flat_workgroup_size: 256
    .name:           _Z17warp_store_kernelILj256ELj32ELj32ELN6hipcub18WarpStoreAlgorithmE3EiEvPT3_
    .private_segment_fixed_size: 0
    .sgpr_count:     9
    .sgpr_spill_count: 0
    .symbol:         _Z17warp_store_kernelILj256ELj32ELj32ELN6hipcub18WarpStoreAlgorithmE3EiEvPT3_.kd
    .uniform_work_group_size: 1
    .uses_dynamic_stack: false
    .vgpr_count:     34
    .vgpr_spill_count: 0
    .wavefront_size: 32
    .workgroup_processor_mode: 1
  - .args:
      - .address_space:  global
        .offset:         0
        .size:           8
        .value_kind:     global_buffer
    .group_segment_fixed_size: 0
    .kernarg_segment_align: 8
    .kernarg_segment_size: 8
    .language:       OpenCL C
    .language_version:
      - 2
      - 0
    .max_flat_workgroup_size: 256
    .name:           _Z17warp_store_kernelILj256ELj64ELj32ELN6hipcub18WarpStoreAlgorithmE0EiEvPT3_
    .private_segment_fixed_size: 0
    .sgpr_count:     9
    .sgpr_spill_count: 0
    .symbol:         _Z17warp_store_kernelILj256ELj64ELj32ELN6hipcub18WarpStoreAlgorithmE0EiEvPT3_.kd
    .uniform_work_group_size: 1
    .uses_dynamic_stack: false
    .vgpr_count:     22
    .vgpr_spill_count: 0
    .wavefront_size: 32
    .workgroup_processor_mode: 1
  - .args:
      - .address_space:  global
        .offset:         0
        .size:           8
        .value_kind:     global_buffer
    .group_segment_fixed_size: 0
    .kernarg_segment_align: 8
    .kernarg_segment_size: 8
    .language:       OpenCL C
    .language_version:
      - 2
      - 0
    .max_flat_workgroup_size: 256
    .name:           _Z17warp_store_kernelILj256ELj64ELj32ELN6hipcub18WarpStoreAlgorithmE1EiEvPT3_
    .private_segment_fixed_size: 0
    .sgpr_count:     9
    .sgpr_spill_count: 0
    .symbol:         _Z17warp_store_kernelILj256ELj64ELj32ELN6hipcub18WarpStoreAlgorithmE1EiEvPT3_.kd
    .uniform_work_group_size: 1
    .uses_dynamic_stack: false
    .vgpr_count:     13
    .vgpr_spill_count: 0
    .wavefront_size: 32
    .workgroup_processor_mode: 1
  - .args:
      - .address_space:  global
        .offset:         0
        .size:           8
        .value_kind:     global_buffer
    .group_segment_fixed_size: 0
    .kernarg_segment_align: 8
    .kernarg_segment_size: 8
    .language:       OpenCL C
    .language_version:
      - 2
      - 0
    .max_flat_workgroup_size: 256
    .name:           _Z17warp_store_kernelILj256ELj64ELj32ELN6hipcub18WarpStoreAlgorithmE2EiEvPT3_
    .private_segment_fixed_size: 0
    .sgpr_count:     9
    .sgpr_spill_count: 0
    .symbol:         _Z17warp_store_kernelILj256ELj64ELj32ELN6hipcub18WarpStoreAlgorithmE2EiEvPT3_.kd
    .uniform_work_group_size: 1
    .uses_dynamic_stack: false
    .vgpr_count:     22
    .vgpr_spill_count: 0
    .wavefront_size: 32
    .workgroup_processor_mode: 1
  - .args:
      - .address_space:  global
        .offset:         0
        .size:           8
        .value_kind:     global_buffer
    .group_segment_fixed_size: 0
    .kernarg_segment_align: 8
    .kernarg_segment_size: 8
    .language:       OpenCL C
    .language_version:
      - 2
      - 0
    .max_flat_workgroup_size: 256
    .name:           _Z17warp_store_kernelILj256ELj4ELj32ELN6hipcub18WarpStoreAlgorithmE0EdEvPT3_
    .private_segment_fixed_size: 0
    .sgpr_count:     9
    .sgpr_spill_count: 0
    .symbol:         _Z17warp_store_kernelILj256ELj4ELj32ELN6hipcub18WarpStoreAlgorithmE0EdEvPT3_.kd
    .uniform_work_group_size: 1
    .uses_dynamic_stack: false
    .vgpr_count:     10
    .vgpr_spill_count: 0
    .wavefront_size: 32
    .workgroup_processor_mode: 1
  - .args:
      - .address_space:  global
        .offset:         0
        .size:           8
        .value_kind:     global_buffer
    .group_segment_fixed_size: 0
    .kernarg_segment_align: 8
    .kernarg_segment_size: 8
    .language:       OpenCL C
    .language_version:
      - 2
      - 0
    .max_flat_workgroup_size: 256
    .name:           _Z17warp_store_kernelILj256ELj4ELj32ELN6hipcub18WarpStoreAlgorithmE1EdEvPT3_
    .private_segment_fixed_size: 0
    .sgpr_count:     9
    .sgpr_spill_count: 0
    .symbol:         _Z17warp_store_kernelILj256ELj4ELj32ELN6hipcub18WarpStoreAlgorithmE1EdEvPT3_.kd
    .uniform_work_group_size: 1
    .uses_dynamic_stack: false
    .vgpr_count:     11
    .vgpr_spill_count: 0
    .wavefront_size: 32
    .workgroup_processor_mode: 1
  - .args:
      - .address_space:  global
        .offset:         0
        .size:           8
        .value_kind:     global_buffer
    .group_segment_fixed_size: 0
    .kernarg_segment_align: 8
    .kernarg_segment_size: 8
    .language:       OpenCL C
    .language_version:
      - 2
      - 0
    .max_flat_workgroup_size: 256
    .name:           _Z17warp_store_kernelILj256ELj4ELj32ELN6hipcub18WarpStoreAlgorithmE2EdEvPT3_
    .private_segment_fixed_size: 0
    .sgpr_count:     9
    .sgpr_spill_count: 0
    .symbol:         _Z17warp_store_kernelILj256ELj4ELj32ELN6hipcub18WarpStoreAlgorithmE2EdEvPT3_.kd
    .uniform_work_group_size: 1
    .uses_dynamic_stack: false
    .vgpr_count:     10
    .vgpr_spill_count: 0
    .wavefront_size: 32
    .workgroup_processor_mode: 1
  - .args:
      - .address_space:  global
        .offset:         0
        .size:           8
        .value_kind:     global_buffer
    .group_segment_fixed_size: 8192
    .kernarg_segment_align: 8
    .kernarg_segment_size: 8
    .language:       OpenCL C
    .language_version:
      - 2
      - 0
    .max_flat_workgroup_size: 256
    .name:           _Z17warp_store_kernelILj256ELj4ELj32ELN6hipcub18WarpStoreAlgorithmE3EdEvPT3_
    .private_segment_fixed_size: 0
    .sgpr_count:     9
    .sgpr_spill_count: 0
    .symbol:         _Z17warp_store_kernelILj256ELj4ELj32ELN6hipcub18WarpStoreAlgorithmE3EdEvPT3_.kd
    .uniform_work_group_size: 1
    .uses_dynamic_stack: false
    .vgpr_count:     13
    .vgpr_spill_count: 0
    .wavefront_size: 32
    .workgroup_processor_mode: 1
  - .args:
      - .address_space:  global
        .offset:         0
        .size:           8
        .value_kind:     global_buffer
    .group_segment_fixed_size: 0
    .kernarg_segment_align: 8
    .kernarg_segment_size: 8
    .language:       OpenCL C
    .language_version:
      - 2
      - 0
    .max_flat_workgroup_size: 256
    .name:           _Z17warp_store_kernelILj256ELj8ELj32ELN6hipcub18WarpStoreAlgorithmE0EdEvPT3_
    .private_segment_fixed_size: 0
    .sgpr_count:     9
    .sgpr_spill_count: 0
    .symbol:         _Z17warp_store_kernelILj256ELj8ELj32ELN6hipcub18WarpStoreAlgorithmE0EdEvPT3_.kd
    .uniform_work_group_size: 1
    .uses_dynamic_stack: false
    .vgpr_count:     18
    .vgpr_spill_count: 0
    .wavefront_size: 32
    .workgroup_processor_mode: 1
  - .args:
      - .address_space:  global
        .offset:         0
        .size:           8
        .value_kind:     global_buffer
    .group_segment_fixed_size: 0
    .kernarg_segment_align: 8
    .kernarg_segment_size: 8
    .language:       OpenCL C
    .language_version:
      - 2
      - 0
    .max_flat_workgroup_size: 256
    .name:           _Z17warp_store_kernelILj256ELj8ELj32ELN6hipcub18WarpStoreAlgorithmE1EdEvPT3_
    .private_segment_fixed_size: 0
    .sgpr_count:     9
    .sgpr_spill_count: 0
    .symbol:         _Z17warp_store_kernelILj256ELj8ELj32ELN6hipcub18WarpStoreAlgorithmE1EdEvPT3_.kd
    .uniform_work_group_size: 1
    .uses_dynamic_stack: false
    .vgpr_count:     15
    .vgpr_spill_count: 0
    .wavefront_size: 32
    .workgroup_processor_mode: 1
  - .args:
      - .address_space:  global
        .offset:         0
        .size:           8
        .value_kind:     global_buffer
    .group_segment_fixed_size: 0
    .kernarg_segment_align: 8
    .kernarg_segment_size: 8
    .language:       OpenCL C
    .language_version:
      - 2
      - 0
    .max_flat_workgroup_size: 256
    .name:           _Z17warp_store_kernelILj256ELj8ELj32ELN6hipcub18WarpStoreAlgorithmE2EdEvPT3_
    .private_segment_fixed_size: 0
    .sgpr_count:     9
    .sgpr_spill_count: 0
    .symbol:         _Z17warp_store_kernelILj256ELj8ELj32ELN6hipcub18WarpStoreAlgorithmE2EdEvPT3_.kd
    .uniform_work_group_size: 1
    .uses_dynamic_stack: false
    .vgpr_count:     18
    .vgpr_spill_count: 0
    .wavefront_size: 32
    .workgroup_processor_mode: 1
  - .args:
      - .address_space:  global
        .offset:         0
        .size:           8
        .value_kind:     global_buffer
    .group_segment_fixed_size: 16384
    .kernarg_segment_align: 8
    .kernarg_segment_size: 8
    .language:       OpenCL C
    .language_version:
      - 2
      - 0
    .max_flat_workgroup_size: 256
    .name:           _Z17warp_store_kernelILj256ELj8ELj32ELN6hipcub18WarpStoreAlgorithmE3EdEvPT3_
    .private_segment_fixed_size: 0
    .sgpr_count:     9
    .sgpr_spill_count: 0
    .symbol:         _Z17warp_store_kernelILj256ELj8ELj32ELN6hipcub18WarpStoreAlgorithmE3EdEvPT3_.kd
    .uniform_work_group_size: 1
    .uses_dynamic_stack: false
    .vgpr_count:     21
    .vgpr_spill_count: 0
    .wavefront_size: 32
    .workgroup_processor_mode: 1
  - .args:
      - .address_space:  global
        .offset:         0
        .size:           8
        .value_kind:     global_buffer
    .group_segment_fixed_size: 0
    .kernarg_segment_align: 8
    .kernarg_segment_size: 8
    .language:       OpenCL C
    .language_version:
      - 2
      - 0
    .max_flat_workgroup_size: 256
    .name:           _Z17warp_store_kernelILj256ELj16ELj32ELN6hipcub18WarpStoreAlgorithmE0EdEvPT3_
    .private_segment_fixed_size: 0
    .sgpr_count:     9
    .sgpr_spill_count: 0
    .symbol:         _Z17warp_store_kernelILj256ELj16ELj32ELN6hipcub18WarpStoreAlgorithmE0EdEvPT3_.kd
    .uniform_work_group_size: 1
    .uses_dynamic_stack: false
    .vgpr_count:     24
    .vgpr_spill_count: 0
    .wavefront_size: 32
    .workgroup_processor_mode: 1
  - .args:
      - .address_space:  global
        .offset:         0
        .size:           8
        .value_kind:     global_buffer
    .group_segment_fixed_size: 0
    .kernarg_segment_align: 8
    .kernarg_segment_size: 8
    .language:       OpenCL C
    .language_version:
      - 2
      - 0
    .max_flat_workgroup_size: 256
    .name:           _Z17warp_store_kernelILj256ELj16ELj32ELN6hipcub18WarpStoreAlgorithmE1EdEvPT3_
    .private_segment_fixed_size: 0
    .sgpr_count:     9
    .sgpr_spill_count: 0
    .symbol:         _Z17warp_store_kernelILj256ELj16ELj32ELN6hipcub18WarpStoreAlgorithmE1EdEvPT3_.kd
    .uniform_work_group_size: 1
    .uses_dynamic_stack: false
    .vgpr_count:     17
    .vgpr_spill_count: 0
    .wavefront_size: 32
    .workgroup_processor_mode: 1
  - .args:
      - .address_space:  global
        .offset:         0
        .size:           8
        .value_kind:     global_buffer
    .group_segment_fixed_size: 0
    .kernarg_segment_align: 8
    .kernarg_segment_size: 8
    .language:       OpenCL C
    .language_version:
      - 2
      - 0
    .max_flat_workgroup_size: 256
    .name:           _Z17warp_store_kernelILj256ELj16ELj32ELN6hipcub18WarpStoreAlgorithmE2EdEvPT3_
    .private_segment_fixed_size: 0
    .sgpr_count:     9
    .sgpr_spill_count: 0
    .symbol:         _Z17warp_store_kernelILj256ELj16ELj32ELN6hipcub18WarpStoreAlgorithmE2EdEvPT3_.kd
    .uniform_work_group_size: 1
    .uses_dynamic_stack: false
    .vgpr_count:     24
    .vgpr_spill_count: 0
    .wavefront_size: 32
    .workgroup_processor_mode: 1
  - .args:
      - .address_space:  global
        .offset:         0
        .size:           8
        .value_kind:     global_buffer
    .group_segment_fixed_size: 32768
    .kernarg_segment_align: 8
    .kernarg_segment_size: 8
    .language:       OpenCL C
    .language_version:
      - 2
      - 0
    .max_flat_workgroup_size: 256
    .name:           _Z17warp_store_kernelILj256ELj16ELj32ELN6hipcub18WarpStoreAlgorithmE3EdEvPT3_
    .private_segment_fixed_size: 0
    .sgpr_count:     9
    .sgpr_spill_count: 0
    .symbol:         _Z17warp_store_kernelILj256ELj16ELj32ELN6hipcub18WarpStoreAlgorithmE3EdEvPT3_.kd
    .uniform_work_group_size: 1
    .uses_dynamic_stack: false
    .vgpr_count:     34
    .vgpr_spill_count: 0
    .wavefront_size: 32
    .workgroup_processor_mode: 1
  - .args:
      - .address_space:  global
        .offset:         0
        .size:           8
        .value_kind:     global_buffer
    .group_segment_fixed_size: 0
    .kernarg_segment_align: 8
    .kernarg_segment_size: 8
    .language:       OpenCL C
    .language_version:
      - 2
      - 0
    .max_flat_workgroup_size: 256
    .name:           _Z17warp_store_kernelILj256ELj32ELj32ELN6hipcub18WarpStoreAlgorithmE0EdEvPT3_
    .private_segment_fixed_size: 0
    .sgpr_count:     9
    .sgpr_spill_count: 0
    .symbol:         _Z17warp_store_kernelILj256ELj32ELj32ELN6hipcub18WarpStoreAlgorithmE0EdEvPT3_.kd
    .uniform_work_group_size: 1
    .uses_dynamic_stack: false
    .vgpr_count:     26
    .vgpr_spill_count: 0
    .wavefront_size: 32
    .workgroup_processor_mode: 1
  - .args:
      - .address_space:  global
        .offset:         0
        .size:           8
        .value_kind:     global_buffer
    .group_segment_fixed_size: 0
    .kernarg_segment_align: 8
    .kernarg_segment_size: 8
    .language:       OpenCL C
    .language_version:
      - 2
      - 0
    .max_flat_workgroup_size: 256
    .name:           _Z17warp_store_kernelILj256ELj32ELj32ELN6hipcub18WarpStoreAlgorithmE1EdEvPT3_
    .private_segment_fixed_size: 0
    .sgpr_count:     9
    .sgpr_spill_count: 0
    .symbol:         _Z17warp_store_kernelILj256ELj32ELj32ELN6hipcub18WarpStoreAlgorithmE1EdEvPT3_.kd
    .uniform_work_group_size: 1
    .uses_dynamic_stack: false
    .vgpr_count:     19
    .vgpr_spill_count: 0
    .wavefront_size: 32
    .workgroup_processor_mode: 1
  - .args:
      - .address_space:  global
        .offset:         0
        .size:           8
        .value_kind:     global_buffer
    .group_segment_fixed_size: 0
    .kernarg_segment_align: 8
    .kernarg_segment_size: 8
    .language:       OpenCL C
    .language_version:
      - 2
      - 0
    .max_flat_workgroup_size: 256
    .name:           _Z17warp_store_kernelILj256ELj32ELj32ELN6hipcub18WarpStoreAlgorithmE2EdEvPT3_
    .private_segment_fixed_size: 0
    .sgpr_count:     9
    .sgpr_spill_count: 0
    .symbol:         _Z17warp_store_kernelILj256ELj32ELj32ELN6hipcub18WarpStoreAlgorithmE2EdEvPT3_.kd
    .uniform_work_group_size: 1
    .uses_dynamic_stack: false
    .vgpr_count:     26
    .vgpr_spill_count: 0
    .wavefront_size: 32
    .workgroup_processor_mode: 1
  - .args:
      - .address_space:  global
        .offset:         0
        .size:           8
        .value_kind:     global_buffer
    .group_segment_fixed_size: 0
    .kernarg_segment_align: 8
    .kernarg_segment_size: 8
    .language:       OpenCL C
    .language_version:
      - 2
      - 0
    .max_flat_workgroup_size: 256
    .name:           _Z17warp_store_kernelILj256ELj64ELj32ELN6hipcub18WarpStoreAlgorithmE0EdEvPT3_
    .private_segment_fixed_size: 0
    .sgpr_count:     9
    .sgpr_spill_count: 0
    .symbol:         _Z17warp_store_kernelILj256ELj64ELj32ELN6hipcub18WarpStoreAlgorithmE0EdEvPT3_.kd
    .uniform_work_group_size: 1
    .uses_dynamic_stack: false
    .vgpr_count:     26
    .vgpr_spill_count: 0
    .wavefront_size: 32
    .workgroup_processor_mode: 1
  - .args:
      - .address_space:  global
        .offset:         0
        .size:           8
        .value_kind:     global_buffer
    .group_segment_fixed_size: 0
    .kernarg_segment_align: 8
    .kernarg_segment_size: 8
    .language:       OpenCL C
    .language_version:
      - 2
      - 0
    .max_flat_workgroup_size: 256
    .name:           _Z17warp_store_kernelILj256ELj64ELj32ELN6hipcub18WarpStoreAlgorithmE1EdEvPT3_
    .private_segment_fixed_size: 0
    .sgpr_count:     9
    .sgpr_spill_count: 0
    .symbol:         _Z17warp_store_kernelILj256ELj64ELj32ELN6hipcub18WarpStoreAlgorithmE1EdEvPT3_.kd
    .uniform_work_group_size: 1
    .uses_dynamic_stack: false
    .vgpr_count:     21
    .vgpr_spill_count: 0
    .wavefront_size: 32
    .workgroup_processor_mode: 1
  - .args:
      - .address_space:  global
        .offset:         0
        .size:           8
        .value_kind:     global_buffer
    .group_segment_fixed_size: 0
    .kernarg_segment_align: 8
    .kernarg_segment_size: 8
    .language:       OpenCL C
    .language_version:
      - 2
      - 0
    .max_flat_workgroup_size: 256
    .name:           _Z17warp_store_kernelILj256ELj64ELj32ELN6hipcub18WarpStoreAlgorithmE2EdEvPT3_
    .private_segment_fixed_size: 0
    .sgpr_count:     9
    .sgpr_spill_count: 0
    .symbol:         _Z17warp_store_kernelILj256ELj64ELj32ELN6hipcub18WarpStoreAlgorithmE2EdEvPT3_.kd
    .uniform_work_group_size: 1
    .uses_dynamic_stack: false
    .vgpr_count:     26
    .vgpr_spill_count: 0
    .wavefront_size: 32
    .workgroup_processor_mode: 1
  - .args:
      - .address_space:  global
        .offset:         0
        .size:           8
        .value_kind:     global_buffer
    .group_segment_fixed_size: 0
    .kernarg_segment_align: 8
    .kernarg_segment_size: 8
    .language:       OpenCL C
    .language_version:
      - 2
      - 0
    .max_flat_workgroup_size: 256
    .name:           _Z17warp_store_kernelILj256ELj4ELj64ELN6hipcub18WarpStoreAlgorithmE0EiEvPT3_
    .private_segment_fixed_size: 0
    .sgpr_count:     9
    .sgpr_spill_count: 0
    .symbol:         _Z17warp_store_kernelILj256ELj4ELj64ELN6hipcub18WarpStoreAlgorithmE0EiEvPT3_.kd
    .uniform_work_group_size: 1
    .uses_dynamic_stack: false
    .vgpr_count:     7
    .vgpr_spill_count: 0
    .wavefront_size: 32
    .workgroup_processor_mode: 1
  - .args:
      - .address_space:  global
        .offset:         0
        .size:           8
        .value_kind:     global_buffer
    .group_segment_fixed_size: 0
    .kernarg_segment_align: 8
    .kernarg_segment_size: 8
    .language:       OpenCL C
    .language_version:
      - 2
      - 0
    .max_flat_workgroup_size: 256
    .name:           _Z17warp_store_kernelILj256ELj4ELj64ELN6hipcub18WarpStoreAlgorithmE1EiEvPT3_
    .private_segment_fixed_size: 0
    .sgpr_count:     9
    .sgpr_spill_count: 0
    .symbol:         _Z17warp_store_kernelILj256ELj4ELj64ELN6hipcub18WarpStoreAlgorithmE1EiEvPT3_.kd
    .uniform_work_group_size: 1
    .uses_dynamic_stack: false
    .vgpr_count:     6
    .vgpr_spill_count: 0
    .wavefront_size: 32
    .workgroup_processor_mode: 1
  - .args:
      - .address_space:  global
        .offset:         0
        .size:           8
        .value_kind:     global_buffer
    .group_segment_fixed_size: 0
    .kernarg_segment_align: 8
    .kernarg_segment_size: 8
    .language:       OpenCL C
    .language_version:
      - 2
      - 0
    .max_flat_workgroup_size: 256
    .name:           _Z17warp_store_kernelILj256ELj4ELj64ELN6hipcub18WarpStoreAlgorithmE2EiEvPT3_
    .private_segment_fixed_size: 0
    .sgpr_count:     9
    .sgpr_spill_count: 0
    .symbol:         _Z17warp_store_kernelILj256ELj4ELj64ELN6hipcub18WarpStoreAlgorithmE2EiEvPT3_.kd
    .uniform_work_group_size: 1
    .uses_dynamic_stack: false
    .vgpr_count:     7
    .vgpr_spill_count: 0
    .wavefront_size: 32
    .workgroup_processor_mode: 1
  - .args:
      - .address_space:  global
        .offset:         0
        .size:           8
        .value_kind:     global_buffer
    .group_segment_fixed_size: 4096
    .kernarg_segment_align: 8
    .kernarg_segment_size: 8
    .language:       OpenCL C
    .language_version:
      - 2
      - 0
    .max_flat_workgroup_size: 256
    .name:           _Z17warp_store_kernelILj256ELj4ELj64ELN6hipcub18WarpStoreAlgorithmE3EiEvPT3_
    .private_segment_fixed_size: 0
    .sgpr_count:     9
    .sgpr_spill_count: 0
    .symbol:         _Z17warp_store_kernelILj256ELj4ELj64ELN6hipcub18WarpStoreAlgorithmE3EiEvPT3_.kd
    .uniform_work_group_size: 1
    .uses_dynamic_stack: false
    .vgpr_count:     9
    .vgpr_spill_count: 0
    .wavefront_size: 32
    .workgroup_processor_mode: 1
  - .args:
      - .address_space:  global
        .offset:         0
        .size:           8
        .value_kind:     global_buffer
    .group_segment_fixed_size: 0
    .kernarg_segment_align: 8
    .kernarg_segment_size: 8
    .language:       OpenCL C
    .language_version:
      - 2
      - 0
    .max_flat_workgroup_size: 256
    .name:           _Z17warp_store_kernelILj256ELj8ELj64ELN6hipcub18WarpStoreAlgorithmE0EiEvPT3_
    .private_segment_fixed_size: 0
    .sgpr_count:     9
    .sgpr_spill_count: 0
    .symbol:         _Z17warp_store_kernelILj256ELj8ELj64ELN6hipcub18WarpStoreAlgorithmE0EiEvPT3_.kd
    .uniform_work_group_size: 1
    .uses_dynamic_stack: false
    .vgpr_count:     11
    .vgpr_spill_count: 0
    .wavefront_size: 32
    .workgroup_processor_mode: 1
  - .args:
      - .address_space:  global
        .offset:         0
        .size:           8
        .value_kind:     global_buffer
    .group_segment_fixed_size: 0
    .kernarg_segment_align: 8
    .kernarg_segment_size: 8
    .language:       OpenCL C
    .language_version:
      - 2
      - 0
    .max_flat_workgroup_size: 256
    .name:           _Z17warp_store_kernelILj256ELj8ELj64ELN6hipcub18WarpStoreAlgorithmE1EiEvPT3_
    .private_segment_fixed_size: 0
    .sgpr_count:     9
    .sgpr_spill_count: 0
    .symbol:         _Z17warp_store_kernelILj256ELj8ELj64ELN6hipcub18WarpStoreAlgorithmE1EiEvPT3_.kd
    .uniform_work_group_size: 1
    .uses_dynamic_stack: false
    .vgpr_count:     10
    .vgpr_spill_count: 0
    .wavefront_size: 32
    .workgroup_processor_mode: 1
  - .args:
      - .address_space:  global
        .offset:         0
        .size:           8
        .value_kind:     global_buffer
    .group_segment_fixed_size: 0
    .kernarg_segment_align: 8
    .kernarg_segment_size: 8
    .language:       OpenCL C
    .language_version:
      - 2
      - 0
    .max_flat_workgroup_size: 256
    .name:           _Z17warp_store_kernelILj256ELj8ELj64ELN6hipcub18WarpStoreAlgorithmE2EiEvPT3_
    .private_segment_fixed_size: 0
    .sgpr_count:     9
    .sgpr_spill_count: 0
    .symbol:         _Z17warp_store_kernelILj256ELj8ELj64ELN6hipcub18WarpStoreAlgorithmE2EiEvPT3_.kd
    .uniform_work_group_size: 1
    .uses_dynamic_stack: false
    .vgpr_count:     11
    .vgpr_spill_count: 0
    .wavefront_size: 32
    .workgroup_processor_mode: 1
  - .args:
      - .address_space:  global
        .offset:         0
        .size:           8
        .value_kind:     global_buffer
    .group_segment_fixed_size: 8192
    .kernarg_segment_align: 8
    .kernarg_segment_size: 8
    .language:       OpenCL C
    .language_version:
      - 2
      - 0
    .max_flat_workgroup_size: 256
    .name:           _Z17warp_store_kernelILj256ELj8ELj64ELN6hipcub18WarpStoreAlgorithmE3EiEvPT3_
    .private_segment_fixed_size: 0
    .sgpr_count:     9
    .sgpr_spill_count: 0
    .symbol:         _Z17warp_store_kernelILj256ELj8ELj64ELN6hipcub18WarpStoreAlgorithmE3EiEvPT3_.kd
    .uniform_work_group_size: 1
    .uses_dynamic_stack: false
    .vgpr_count:     13
    .vgpr_spill_count: 0
    .wavefront_size: 32
    .workgroup_processor_mode: 1
  - .args:
      - .address_space:  global
        .offset:         0
        .size:           8
        .value_kind:     global_buffer
    .group_segment_fixed_size: 0
    .kernarg_segment_align: 8
    .kernarg_segment_size: 8
    .language:       OpenCL C
    .language_version:
      - 2
      - 0
    .max_flat_workgroup_size: 256
    .name:           _Z17warp_store_kernelILj256ELj16ELj64ELN6hipcub18WarpStoreAlgorithmE0EiEvPT3_
    .private_segment_fixed_size: 0
    .sgpr_count:     9
    .sgpr_spill_count: 0
    .symbol:         _Z17warp_store_kernelILj256ELj16ELj64ELN6hipcub18WarpStoreAlgorithmE0EiEvPT3_.kd
    .uniform_work_group_size: 1
    .uses_dynamic_stack: false
    .vgpr_count:     18
    .vgpr_spill_count: 0
    .wavefront_size: 32
    .workgroup_processor_mode: 1
  - .args:
      - .address_space:  global
        .offset:         0
        .size:           8
        .value_kind:     global_buffer
    .group_segment_fixed_size: 0
    .kernarg_segment_align: 8
    .kernarg_segment_size: 8
    .language:       OpenCL C
    .language_version:
      - 2
      - 0
    .max_flat_workgroup_size: 256
    .name:           _Z17warp_store_kernelILj256ELj16ELj64ELN6hipcub18WarpStoreAlgorithmE1EiEvPT3_
    .private_segment_fixed_size: 0
    .sgpr_count:     9
    .sgpr_spill_count: 0
    .symbol:         _Z17warp_store_kernelILj256ELj16ELj64ELN6hipcub18WarpStoreAlgorithmE1EiEvPT3_.kd
    .uniform_work_group_size: 1
    .uses_dynamic_stack: false
    .vgpr_count:     10
    .vgpr_spill_count: 0
    .wavefront_size: 32
    .workgroup_processor_mode: 1
  - .args:
      - .address_space:  global
        .offset:         0
        .size:           8
        .value_kind:     global_buffer
    .group_segment_fixed_size: 0
    .kernarg_segment_align: 8
    .kernarg_segment_size: 8
    .language:       OpenCL C
    .language_version:
      - 2
      - 0
    .max_flat_workgroup_size: 256
    .name:           _Z17warp_store_kernelILj256ELj16ELj64ELN6hipcub18WarpStoreAlgorithmE2EiEvPT3_
    .private_segment_fixed_size: 0
    .sgpr_count:     9
    .sgpr_spill_count: 0
    .symbol:         _Z17warp_store_kernelILj256ELj16ELj64ELN6hipcub18WarpStoreAlgorithmE2EiEvPT3_.kd
    .uniform_work_group_size: 1
    .uses_dynamic_stack: false
    .vgpr_count:     18
    .vgpr_spill_count: 0
    .wavefront_size: 32
    .workgroup_processor_mode: 1
  - .args:
      - .address_space:  global
        .offset:         0
        .size:           8
        .value_kind:     global_buffer
    .group_segment_fixed_size: 16384
    .kernarg_segment_align: 8
    .kernarg_segment_size: 8
    .language:       OpenCL C
    .language_version:
      - 2
      - 0
    .max_flat_workgroup_size: 256
    .name:           _Z17warp_store_kernelILj256ELj16ELj64ELN6hipcub18WarpStoreAlgorithmE3EiEvPT3_
    .private_segment_fixed_size: 0
    .sgpr_count:     9
    .sgpr_spill_count: 0
    .symbol:         _Z17warp_store_kernelILj256ELj16ELj64ELN6hipcub18WarpStoreAlgorithmE3EiEvPT3_.kd
    .uniform_work_group_size: 1
    .uses_dynamic_stack: false
    .vgpr_count:     21
    .vgpr_spill_count: 0
    .wavefront_size: 32
    .workgroup_processor_mode: 1
  - .args:
      - .address_space:  global
        .offset:         0
        .size:           8
        .value_kind:     global_buffer
    .group_segment_fixed_size: 0
    .kernarg_segment_align: 8
    .kernarg_segment_size: 8
    .language:       OpenCL C
    .language_version:
      - 2
      - 0
    .max_flat_workgroup_size: 256
    .name:           _Z17warp_store_kernelILj256ELj32ELj64ELN6hipcub18WarpStoreAlgorithmE0EiEvPT3_
    .private_segment_fixed_size: 0
    .sgpr_count:     9
    .sgpr_spill_count: 0
    .symbol:         _Z17warp_store_kernelILj256ELj32ELj64ELN6hipcub18WarpStoreAlgorithmE0EiEvPT3_.kd
    .uniform_work_group_size: 1
    .uses_dynamic_stack: false
    .vgpr_count:     22
    .vgpr_spill_count: 0
    .wavefront_size: 32
    .workgroup_processor_mode: 1
  - .args:
      - .address_space:  global
        .offset:         0
        .size:           8
        .value_kind:     global_buffer
    .group_segment_fixed_size: 0
    .kernarg_segment_align: 8
    .kernarg_segment_size: 8
    .language:       OpenCL C
    .language_version:
      - 2
      - 0
    .max_flat_workgroup_size: 256
    .name:           _Z17warp_store_kernelILj256ELj32ELj64ELN6hipcub18WarpStoreAlgorithmE1EiEvPT3_
    .private_segment_fixed_size: 0
    .sgpr_count:     9
    .sgpr_spill_count: 0
    .symbol:         _Z17warp_store_kernelILj256ELj32ELj64ELN6hipcub18WarpStoreAlgorithmE1EiEvPT3_.kd
    .uniform_work_group_size: 1
    .uses_dynamic_stack: false
    .vgpr_count:     11
    .vgpr_spill_count: 0
    .wavefront_size: 32
    .workgroup_processor_mode: 1
  - .args:
      - .address_space:  global
        .offset:         0
        .size:           8
        .value_kind:     global_buffer
    .group_segment_fixed_size: 0
    .kernarg_segment_align: 8
    .kernarg_segment_size: 8
    .language:       OpenCL C
    .language_version:
      - 2
      - 0
    .max_flat_workgroup_size: 256
    .name:           _Z17warp_store_kernelILj256ELj32ELj64ELN6hipcub18WarpStoreAlgorithmE2EiEvPT3_
    .private_segment_fixed_size: 0
    .sgpr_count:     9
    .sgpr_spill_count: 0
    .symbol:         _Z17warp_store_kernelILj256ELj32ELj64ELN6hipcub18WarpStoreAlgorithmE2EiEvPT3_.kd
    .uniform_work_group_size: 1
    .uses_dynamic_stack: false
    .vgpr_count:     22
    .vgpr_spill_count: 0
    .wavefront_size: 32
    .workgroup_processor_mode: 1
  - .args:
      - .address_space:  global
        .offset:         0
        .size:           8
        .value_kind:     global_buffer
    .group_segment_fixed_size: 32768
    .kernarg_segment_align: 8
    .kernarg_segment_size: 8
    .language:       OpenCL C
    .language_version:
      - 2
      - 0
    .max_flat_workgroup_size: 256
    .name:           _Z17warp_store_kernelILj256ELj32ELj64ELN6hipcub18WarpStoreAlgorithmE3EiEvPT3_
    .private_segment_fixed_size: 0
    .sgpr_count:     9
    .sgpr_spill_count: 0
    .symbol:         _Z17warp_store_kernelILj256ELj32ELj64ELN6hipcub18WarpStoreAlgorithmE3EiEvPT3_.kd
    .uniform_work_group_size: 1
    .uses_dynamic_stack: false
    .vgpr_count:     34
    .vgpr_spill_count: 0
    .wavefront_size: 32
    .workgroup_processor_mode: 1
  - .args:
      - .address_space:  global
        .offset:         0
        .size:           8
        .value_kind:     global_buffer
    .group_segment_fixed_size: 0
    .kernarg_segment_align: 8
    .kernarg_segment_size: 8
    .language:       OpenCL C
    .language_version:
      - 2
      - 0
    .max_flat_workgroup_size: 256
    .name:           _Z17warp_store_kernelILj256ELj64ELj64ELN6hipcub18WarpStoreAlgorithmE0EiEvPT3_
    .private_segment_fixed_size: 0
    .sgpr_count:     9
    .sgpr_spill_count: 0
    .symbol:         _Z17warp_store_kernelILj256ELj64ELj64ELN6hipcub18WarpStoreAlgorithmE0EiEvPT3_.kd
    .uniform_work_group_size: 1
    .uses_dynamic_stack: false
    .vgpr_count:     22
    .vgpr_spill_count: 0
    .wavefront_size: 32
    .workgroup_processor_mode: 1
  - .args:
      - .address_space:  global
        .offset:         0
        .size:           8
        .value_kind:     global_buffer
    .group_segment_fixed_size: 0
    .kernarg_segment_align: 8
    .kernarg_segment_size: 8
    .language:       OpenCL C
    .language_version:
      - 2
      - 0
    .max_flat_workgroup_size: 256
    .name:           _Z17warp_store_kernelILj256ELj64ELj64ELN6hipcub18WarpStoreAlgorithmE1EiEvPT3_
    .private_segment_fixed_size: 0
    .sgpr_count:     9
    .sgpr_spill_count: 0
    .symbol:         _Z17warp_store_kernelILj256ELj64ELj64ELN6hipcub18WarpStoreAlgorithmE1EiEvPT3_.kd
    .uniform_work_group_size: 1
    .uses_dynamic_stack: false
    .vgpr_count:     13
    .vgpr_spill_count: 0
    .wavefront_size: 32
    .workgroup_processor_mode: 1
  - .args:
      - .address_space:  global
        .offset:         0
        .size:           8
        .value_kind:     global_buffer
    .group_segment_fixed_size: 0
    .kernarg_segment_align: 8
    .kernarg_segment_size: 8
    .language:       OpenCL C
    .language_version:
      - 2
      - 0
    .max_flat_workgroup_size: 256
    .name:           _Z17warp_store_kernelILj256ELj64ELj64ELN6hipcub18WarpStoreAlgorithmE2EiEvPT3_
    .private_segment_fixed_size: 0
    .sgpr_count:     9
    .sgpr_spill_count: 0
    .symbol:         _Z17warp_store_kernelILj256ELj64ELj64ELN6hipcub18WarpStoreAlgorithmE2EiEvPT3_.kd
    .uniform_work_group_size: 1
    .uses_dynamic_stack: false
    .vgpr_count:     22
    .vgpr_spill_count: 0
    .wavefront_size: 32
    .workgroup_processor_mode: 1
  - .args:
      - .address_space:  global
        .offset:         0
        .size:           8
        .value_kind:     global_buffer
    .group_segment_fixed_size: 0
    .kernarg_segment_align: 8
    .kernarg_segment_size: 8
    .language:       OpenCL C
    .language_version:
      - 2
      - 0
    .max_flat_workgroup_size: 256
    .name:           _Z17warp_store_kernelILj256ELj4ELj64ELN6hipcub18WarpStoreAlgorithmE0EdEvPT3_
    .private_segment_fixed_size: 0
    .sgpr_count:     9
    .sgpr_spill_count: 0
    .symbol:         _Z17warp_store_kernelILj256ELj4ELj64ELN6hipcub18WarpStoreAlgorithmE0EdEvPT3_.kd
    .uniform_work_group_size: 1
    .uses_dynamic_stack: false
    .vgpr_count:     10
    .vgpr_spill_count: 0
    .wavefront_size: 32
    .workgroup_processor_mode: 1
  - .args:
      - .address_space:  global
        .offset:         0
        .size:           8
        .value_kind:     global_buffer
    .group_segment_fixed_size: 0
    .kernarg_segment_align: 8
    .kernarg_segment_size: 8
    .language:       OpenCL C
    .language_version:
      - 2
      - 0
    .max_flat_workgroup_size: 256
    .name:           _Z17warp_store_kernelILj256ELj4ELj64ELN6hipcub18WarpStoreAlgorithmE1EdEvPT3_
    .private_segment_fixed_size: 0
    .sgpr_count:     9
    .sgpr_spill_count: 0
    .symbol:         _Z17warp_store_kernelILj256ELj4ELj64ELN6hipcub18WarpStoreAlgorithmE1EdEvPT3_.kd
    .uniform_work_group_size: 1
    .uses_dynamic_stack: false
    .vgpr_count:     11
    .vgpr_spill_count: 0
    .wavefront_size: 32
    .workgroup_processor_mode: 1
  - .args:
      - .address_space:  global
        .offset:         0
        .size:           8
        .value_kind:     global_buffer
    .group_segment_fixed_size: 0
    .kernarg_segment_align: 8
    .kernarg_segment_size: 8
    .language:       OpenCL C
    .language_version:
      - 2
      - 0
    .max_flat_workgroup_size: 256
    .name:           _Z17warp_store_kernelILj256ELj4ELj64ELN6hipcub18WarpStoreAlgorithmE2EdEvPT3_
    .private_segment_fixed_size: 0
    .sgpr_count:     9
    .sgpr_spill_count: 0
    .symbol:         _Z17warp_store_kernelILj256ELj4ELj64ELN6hipcub18WarpStoreAlgorithmE2EdEvPT3_.kd
    .uniform_work_group_size: 1
    .uses_dynamic_stack: false
    .vgpr_count:     10
    .vgpr_spill_count: 0
    .wavefront_size: 32
    .workgroup_processor_mode: 1
  - .args:
      - .address_space:  global
        .offset:         0
        .size:           8
        .value_kind:     global_buffer
    .group_segment_fixed_size: 8192
    .kernarg_segment_align: 8
    .kernarg_segment_size: 8
    .language:       OpenCL C
    .language_version:
      - 2
      - 0
    .max_flat_workgroup_size: 256
    .name:           _Z17warp_store_kernelILj256ELj4ELj64ELN6hipcub18WarpStoreAlgorithmE3EdEvPT3_
    .private_segment_fixed_size: 0
    .sgpr_count:     9
    .sgpr_spill_count: 0
    .symbol:         _Z17warp_store_kernelILj256ELj4ELj64ELN6hipcub18WarpStoreAlgorithmE3EdEvPT3_.kd
    .uniform_work_group_size: 1
    .uses_dynamic_stack: false
    .vgpr_count:     13
    .vgpr_spill_count: 0
    .wavefront_size: 32
    .workgroup_processor_mode: 1
  - .args:
      - .address_space:  global
        .offset:         0
        .size:           8
        .value_kind:     global_buffer
    .group_segment_fixed_size: 0
    .kernarg_segment_align: 8
    .kernarg_segment_size: 8
    .language:       OpenCL C
    .language_version:
      - 2
      - 0
    .max_flat_workgroup_size: 256
    .name:           _Z17warp_store_kernelILj256ELj8ELj64ELN6hipcub18WarpStoreAlgorithmE0EdEvPT3_
    .private_segment_fixed_size: 0
    .sgpr_count:     9
    .sgpr_spill_count: 0
    .symbol:         _Z17warp_store_kernelILj256ELj8ELj64ELN6hipcub18WarpStoreAlgorithmE0EdEvPT3_.kd
    .uniform_work_group_size: 1
    .uses_dynamic_stack: false
    .vgpr_count:     18
    .vgpr_spill_count: 0
    .wavefront_size: 32
    .workgroup_processor_mode: 1
  - .args:
      - .address_space:  global
        .offset:         0
        .size:           8
        .value_kind:     global_buffer
    .group_segment_fixed_size: 0
    .kernarg_segment_align: 8
    .kernarg_segment_size: 8
    .language:       OpenCL C
    .language_version:
      - 2
      - 0
    .max_flat_workgroup_size: 256
    .name:           _Z17warp_store_kernelILj256ELj8ELj64ELN6hipcub18WarpStoreAlgorithmE1EdEvPT3_
    .private_segment_fixed_size: 0
    .sgpr_count:     9
    .sgpr_spill_count: 0
    .symbol:         _Z17warp_store_kernelILj256ELj8ELj64ELN6hipcub18WarpStoreAlgorithmE1EdEvPT3_.kd
    .uniform_work_group_size: 1
    .uses_dynamic_stack: false
    .vgpr_count:     17
    .vgpr_spill_count: 0
    .wavefront_size: 32
    .workgroup_processor_mode: 1
  - .args:
      - .address_space:  global
        .offset:         0
        .size:           8
        .value_kind:     global_buffer
    .group_segment_fixed_size: 0
    .kernarg_segment_align: 8
    .kernarg_segment_size: 8
    .language:       OpenCL C
    .language_version:
      - 2
      - 0
    .max_flat_workgroup_size: 256
    .name:           _Z17warp_store_kernelILj256ELj8ELj64ELN6hipcub18WarpStoreAlgorithmE2EdEvPT3_
    .private_segment_fixed_size: 0
    .sgpr_count:     9
    .sgpr_spill_count: 0
    .symbol:         _Z17warp_store_kernelILj256ELj8ELj64ELN6hipcub18WarpStoreAlgorithmE2EdEvPT3_.kd
    .uniform_work_group_size: 1
    .uses_dynamic_stack: false
    .vgpr_count:     18
    .vgpr_spill_count: 0
    .wavefront_size: 32
    .workgroup_processor_mode: 1
  - .args:
      - .address_space:  global
        .offset:         0
        .size:           8
        .value_kind:     global_buffer
    .group_segment_fixed_size: 16384
    .kernarg_segment_align: 8
    .kernarg_segment_size: 8
    .language:       OpenCL C
    .language_version:
      - 2
      - 0
    .max_flat_workgroup_size: 256
    .name:           _Z17warp_store_kernelILj256ELj8ELj64ELN6hipcub18WarpStoreAlgorithmE3EdEvPT3_
    .private_segment_fixed_size: 0
    .sgpr_count:     9
    .sgpr_spill_count: 0
    .symbol:         _Z17warp_store_kernelILj256ELj8ELj64ELN6hipcub18WarpStoreAlgorithmE3EdEvPT3_.kd
    .uniform_work_group_size: 1
    .uses_dynamic_stack: false
    .vgpr_count:     21
    .vgpr_spill_count: 0
    .wavefront_size: 32
    .workgroup_processor_mode: 1
  - .args:
      - .address_space:  global
        .offset:         0
        .size:           8
        .value_kind:     global_buffer
    .group_segment_fixed_size: 0
    .kernarg_segment_align: 8
    .kernarg_segment_size: 8
    .language:       OpenCL C
    .language_version:
      - 2
      - 0
    .max_flat_workgroup_size: 256
    .name:           _Z17warp_store_kernelILj256ELj16ELj64ELN6hipcub18WarpStoreAlgorithmE0EdEvPT3_
    .private_segment_fixed_size: 0
    .sgpr_count:     9
    .sgpr_spill_count: 0
    .symbol:         _Z17warp_store_kernelILj256ELj16ELj64ELN6hipcub18WarpStoreAlgorithmE0EdEvPT3_.kd
    .uniform_work_group_size: 1
    .uses_dynamic_stack: false
    .vgpr_count:     24
    .vgpr_spill_count: 0
    .wavefront_size: 32
    .workgroup_processor_mode: 1
  - .args:
      - .address_space:  global
        .offset:         0
        .size:           8
        .value_kind:     global_buffer
    .group_segment_fixed_size: 0
    .kernarg_segment_align: 8
    .kernarg_segment_size: 8
    .language:       OpenCL C
    .language_version:
      - 2
      - 0
    .max_flat_workgroup_size: 256
    .name:           _Z17warp_store_kernelILj256ELj16ELj64ELN6hipcub18WarpStoreAlgorithmE1EdEvPT3_
    .private_segment_fixed_size: 0
    .sgpr_count:     9
    .sgpr_spill_count: 0
    .symbol:         _Z17warp_store_kernelILj256ELj16ELj64ELN6hipcub18WarpStoreAlgorithmE1EdEvPT3_.kd
    .uniform_work_group_size: 1
    .uses_dynamic_stack: false
    .vgpr_count:     21
    .vgpr_spill_count: 0
    .wavefront_size: 32
    .workgroup_processor_mode: 1
  - .args:
      - .address_space:  global
        .offset:         0
        .size:           8
        .value_kind:     global_buffer
    .group_segment_fixed_size: 0
    .kernarg_segment_align: 8
    .kernarg_segment_size: 8
    .language:       OpenCL C
    .language_version:
      - 2
      - 0
    .max_flat_workgroup_size: 256
    .name:           _Z17warp_store_kernelILj256ELj16ELj64ELN6hipcub18WarpStoreAlgorithmE2EdEvPT3_
    .private_segment_fixed_size: 0
    .sgpr_count:     9
    .sgpr_spill_count: 0
    .symbol:         _Z17warp_store_kernelILj256ELj16ELj64ELN6hipcub18WarpStoreAlgorithmE2EdEvPT3_.kd
    .uniform_work_group_size: 1
    .uses_dynamic_stack: false
    .vgpr_count:     24
    .vgpr_spill_count: 0
    .wavefront_size: 32
    .workgroup_processor_mode: 1
  - .args:
      - .address_space:  global
        .offset:         0
        .size:           8
        .value_kind:     global_buffer
    .group_segment_fixed_size: 0
    .kernarg_segment_align: 8
    .kernarg_segment_size: 8
    .language:       OpenCL C
    .language_version:
      - 2
      - 0
    .max_flat_workgroup_size: 256
    .name:           _Z17warp_store_kernelILj256ELj32ELj64ELN6hipcub18WarpStoreAlgorithmE0EdEvPT3_
    .private_segment_fixed_size: 0
    .sgpr_count:     9
    .sgpr_spill_count: 0
    .symbol:         _Z17warp_store_kernelILj256ELj32ELj64ELN6hipcub18WarpStoreAlgorithmE0EdEvPT3_.kd
    .uniform_work_group_size: 1
    .uses_dynamic_stack: false
    .vgpr_count:     26
    .vgpr_spill_count: 0
    .wavefront_size: 32
    .workgroup_processor_mode: 1
  - .args:
      - .address_space:  global
        .offset:         0
        .size:           8
        .value_kind:     global_buffer
    .group_segment_fixed_size: 0
    .kernarg_segment_align: 8
    .kernarg_segment_size: 8
    .language:       OpenCL C
    .language_version:
      - 2
      - 0
    .max_flat_workgroup_size: 256
    .name:           _Z17warp_store_kernelILj256ELj32ELj64ELN6hipcub18WarpStoreAlgorithmE1EdEvPT3_
    .private_segment_fixed_size: 0
    .sgpr_count:     9
    .sgpr_spill_count: 0
    .symbol:         _Z17warp_store_kernelILj256ELj32ELj64ELN6hipcub18WarpStoreAlgorithmE1EdEvPT3_.kd
    .uniform_work_group_size: 1
    .uses_dynamic_stack: false
    .vgpr_count:     21
    .vgpr_spill_count: 0
    .wavefront_size: 32
    .workgroup_processor_mode: 1
  - .args:
      - .address_space:  global
        .offset:         0
        .size:           8
        .value_kind:     global_buffer
    .group_segment_fixed_size: 0
    .kernarg_segment_align: 8
    .kernarg_segment_size: 8
    .language:       OpenCL C
    .language_version:
      - 2
      - 0
    .max_flat_workgroup_size: 256
    .name:           _Z17warp_store_kernelILj256ELj32ELj64ELN6hipcub18WarpStoreAlgorithmE2EdEvPT3_
    .private_segment_fixed_size: 0
    .sgpr_count:     9
    .sgpr_spill_count: 0
    .symbol:         _Z17warp_store_kernelILj256ELj32ELj64ELN6hipcub18WarpStoreAlgorithmE2EdEvPT3_.kd
    .uniform_work_group_size: 1
    .uses_dynamic_stack: false
    .vgpr_count:     26
    .vgpr_spill_count: 0
    .wavefront_size: 32
    .workgroup_processor_mode: 1
  - .args:
      - .address_space:  global
        .offset:         0
        .size:           8
        .value_kind:     global_buffer
    .group_segment_fixed_size: 0
    .kernarg_segment_align: 8
    .kernarg_segment_size: 8
    .language:       OpenCL C
    .language_version:
      - 2
      - 0
    .max_flat_workgroup_size: 256
    .name:           _Z17warp_store_kernelILj256ELj64ELj64ELN6hipcub18WarpStoreAlgorithmE0EdEvPT3_
    .private_segment_fixed_size: 0
    .sgpr_count:     9
    .sgpr_spill_count: 0
    .symbol:         _Z17warp_store_kernelILj256ELj64ELj64ELN6hipcub18WarpStoreAlgorithmE0EdEvPT3_.kd
    .uniform_work_group_size: 1
    .uses_dynamic_stack: false
    .vgpr_count:     26
    .vgpr_spill_count: 0
    .wavefront_size: 32
    .workgroup_processor_mode: 1
  - .args:
      - .address_space:  global
        .offset:         0
        .size:           8
        .value_kind:     global_buffer
    .group_segment_fixed_size: 0
    .kernarg_segment_align: 8
    .kernarg_segment_size: 8
    .language:       OpenCL C
    .language_version:
      - 2
      - 0
    .max_flat_workgroup_size: 256
    .name:           _Z17warp_store_kernelILj256ELj64ELj64ELN6hipcub18WarpStoreAlgorithmE1EdEvPT3_
    .private_segment_fixed_size: 0
    .sgpr_count:     9
    .sgpr_spill_count: 0
    .symbol:         _Z17warp_store_kernelILj256ELj64ELj64ELN6hipcub18WarpStoreAlgorithmE1EdEvPT3_.kd
    .uniform_work_group_size: 1
    .uses_dynamic_stack: false
    .vgpr_count:     21
    .vgpr_spill_count: 0
    .wavefront_size: 32
    .workgroup_processor_mode: 1
  - .args:
      - .address_space:  global
        .offset:         0
        .size:           8
        .value_kind:     global_buffer
    .group_segment_fixed_size: 0
    .kernarg_segment_align: 8
    .kernarg_segment_size: 8
    .language:       OpenCL C
    .language_version:
      - 2
      - 0
    .max_flat_workgroup_size: 256
    .name:           _Z17warp_store_kernelILj256ELj64ELj64ELN6hipcub18WarpStoreAlgorithmE2EdEvPT3_
    .private_segment_fixed_size: 0
    .sgpr_count:     9
    .sgpr_spill_count: 0
    .symbol:         _Z17warp_store_kernelILj256ELj64ELj64ELN6hipcub18WarpStoreAlgorithmE2EdEvPT3_.kd
    .uniform_work_group_size: 1
    .uses_dynamic_stack: false
    .vgpr_count:     26
    .vgpr_spill_count: 0
    .wavefront_size: 32
    .workgroup_processor_mode: 1
amdhsa.target:   amdgcn-amd-amdhsa--gfx1030
amdhsa.version:
  - 1
  - 2
...

	.end_amdgpu_metadata
